;; amdgpu-corpus repo=ROCm/composable_kernel kind=compiled arch=gfx90a opt=O3
	.text
	.amdgcn_target "amdgcn-amd-amdhsa--gfx90a"
	.amdhsa_code_object_version 6
	.section	.text._ZN2ckL12flush_icacheEv,"axG",@progbits,_ZN2ckL12flush_icacheEv,comdat
	.globl	_ZN2ckL12flush_icacheEv         ; -- Begin function _ZN2ckL12flush_icacheEv
	.p2align	8
	.type	_ZN2ckL12flush_icacheEv,@function
_ZN2ckL12flush_icacheEv:                ; @_ZN2ckL12flush_icacheEv
; %bb.0:
	;;#ASMSTART
	s_icache_inv 
	s_nop 0 
	s_nop 0 
	;; [unrolled: 1-line block ×16, first 2 shown]
	
	;;#ASMEND
	s_endpgm
	.section	.rodata,"a",@progbits
	.p2align	6, 0x0
	.amdhsa_kernel _ZN2ckL12flush_icacheEv
		.amdhsa_group_segment_fixed_size 0
		.amdhsa_private_segment_fixed_size 0
		.amdhsa_kernarg_size 0
		.amdhsa_user_sgpr_count 4
		.amdhsa_user_sgpr_private_segment_buffer 1
		.amdhsa_user_sgpr_dispatch_ptr 0
		.amdhsa_user_sgpr_queue_ptr 0
		.amdhsa_user_sgpr_kernarg_segment_ptr 0
		.amdhsa_user_sgpr_dispatch_id 0
		.amdhsa_user_sgpr_flat_scratch_init 0
		.amdhsa_user_sgpr_kernarg_preload_length 0
		.amdhsa_user_sgpr_kernarg_preload_offset 0
		.amdhsa_user_sgpr_private_segment_size 0
		.amdhsa_uses_dynamic_stack 0
		.amdhsa_system_sgpr_private_segment_wavefront_offset 0
		.amdhsa_system_sgpr_workgroup_id_x 1
		.amdhsa_system_sgpr_workgroup_id_y 0
		.amdhsa_system_sgpr_workgroup_id_z 0
		.amdhsa_system_sgpr_workgroup_info 0
		.amdhsa_system_vgpr_workitem_id 0
		.amdhsa_next_free_vgpr 1
		.amdhsa_next_free_sgpr 0
		.amdhsa_accum_offset 4
		.amdhsa_reserve_vcc 0
		.amdhsa_reserve_flat_scratch 0
		.amdhsa_float_round_mode_32 0
		.amdhsa_float_round_mode_16_64 0
		.amdhsa_float_denorm_mode_32 3
		.amdhsa_float_denorm_mode_16_64 3
		.amdhsa_dx10_clamp 1
		.amdhsa_ieee_mode 1
		.amdhsa_fp16_overflow 0
		.amdhsa_tg_split 0
		.amdhsa_exception_fp_ieee_invalid_op 0
		.amdhsa_exception_fp_denorm_src 0
		.amdhsa_exception_fp_ieee_div_zero 0
		.amdhsa_exception_fp_ieee_overflow 0
		.amdhsa_exception_fp_ieee_underflow 0
		.amdhsa_exception_fp_ieee_inexact 0
		.amdhsa_exception_int_div_zero 0
	.end_amdhsa_kernel
	.section	.text._ZN2ckL12flush_icacheEv,"axG",@progbits,_ZN2ckL12flush_icacheEv,comdat
.Lfunc_end0:
	.size	_ZN2ckL12flush_icacheEv, .Lfunc_end0-_ZN2ckL12flush_icacheEv
                                        ; -- End function
	.section	.AMDGPU.csdata,"",@progbits
; Kernel info:
; codeLenInByte = 140
; NumSgprs: 4
; NumVgprs: 0
; NumAgprs: 0
; TotalNumVgprs: 0
; ScratchSize: 0
; MemoryBound: 0
; FloatMode: 240
; IeeeMode: 1
; LDSByteSize: 0 bytes/workgroup (compile time only)
; SGPRBlocks: 0
; VGPRBlocks: 0
; NumSGPRsForWavesPerEU: 4
; NumVGPRsForWavesPerEU: 1
; AccumOffset: 4
; Occupancy: 8
; WaveLimiterHint : 0
; COMPUTE_PGM_RSRC2:SCRATCH_EN: 0
; COMPUTE_PGM_RSRC2:USER_SGPR: 4
; COMPUTE_PGM_RSRC2:TRAP_HANDLER: 0
; COMPUTE_PGM_RSRC2:TGID_X_EN: 1
; COMPUTE_PGM_RSRC2:TGID_Y_EN: 0
; COMPUTE_PGM_RSRC2:TGID_Z_EN: 0
; COMPUTE_PGM_RSRC2:TIDIG_COMP_CNT: 0
; COMPUTE_PGM_RSRC3_GFX90A:ACCUM_OFFSET: 0
; COMPUTE_PGM_RSRC3_GFX90A:TG_SPLIT: 0
	.section	.text._Z10DeviceGemmIDF16_N2ck7wrapper48BlockwisGemmXdlTraits_32x32Xdl_4x2XdlPerWave_8K1ELi8ENS0_5TupleIJNS0_17integral_constantIiLi256EEENS4_IiLi128EEENS4_IiLi32EEEEEENS1_6LayoutINS3_IJNS4_IiLi64EEENS4_IiLi4EEEEEENS0_16TensorDescriptorINS3_IJNS0_5EmbedISC_NS3_IJSB_NS4_IiLi1EEEEEELb0EEEEEENS3_IJNS0_8SequenceIJLi0EEEEEEENS3_IJNSJ_IJLi1ELi2EEEEEEESM_NS4_IlLl256EEEEEEEEvPKvSS_PviiiT2_T3_,"axG",@progbits,_Z10DeviceGemmIDF16_N2ck7wrapper48BlockwisGemmXdlTraits_32x32Xdl_4x2XdlPerWave_8K1ELi8ENS0_5TupleIJNS0_17integral_constantIiLi256EEENS4_IiLi128EEENS4_IiLi32EEEEEENS1_6LayoutINS3_IJNS4_IiLi64EEENS4_IiLi4EEEEEENS0_16TensorDescriptorINS3_IJNS0_5EmbedISC_NS3_IJSB_NS4_IiLi1EEEEEELb0EEEEEENS3_IJNS0_8SequenceIJLi0EEEEEEENS3_IJNSJ_IJLi1ELi2EEEEEEESM_NS4_IlLl256EEEEEEEEvPKvSS_PviiiT2_T3_,comdat
	.protected	_Z10DeviceGemmIDF16_N2ck7wrapper48BlockwisGemmXdlTraits_32x32Xdl_4x2XdlPerWave_8K1ELi8ENS0_5TupleIJNS0_17integral_constantIiLi256EEENS4_IiLi128EEENS4_IiLi32EEEEEENS1_6LayoutINS3_IJNS4_IiLi64EEENS4_IiLi4EEEEEENS0_16TensorDescriptorINS3_IJNS0_5EmbedISC_NS3_IJSB_NS4_IiLi1EEEEEELb0EEEEEENS3_IJNS0_8SequenceIJLi0EEEEEEENS3_IJNSJ_IJLi1ELi2EEEEEEESM_NS4_IlLl256EEEEEEEEvPKvSS_PviiiT2_T3_ ; -- Begin function _Z10DeviceGemmIDF16_N2ck7wrapper48BlockwisGemmXdlTraits_32x32Xdl_4x2XdlPerWave_8K1ELi8ENS0_5TupleIJNS0_17integral_constantIiLi256EEENS4_IiLi128EEENS4_IiLi32EEEEEENS1_6LayoutINS3_IJNS4_IiLi64EEENS4_IiLi4EEEEEENS0_16TensorDescriptorINS3_IJNS0_5EmbedISC_NS3_IJSB_NS4_IiLi1EEEEEELb0EEEEEENS3_IJNS0_8SequenceIJLi0EEEEEEENS3_IJNSJ_IJLi1ELi2EEEEEEESM_NS4_IlLl256EEEEEEEEvPKvSS_PviiiT2_T3_
	.globl	_Z10DeviceGemmIDF16_N2ck7wrapper48BlockwisGemmXdlTraits_32x32Xdl_4x2XdlPerWave_8K1ELi8ENS0_5TupleIJNS0_17integral_constantIiLi256EEENS4_IiLi128EEENS4_IiLi32EEEEEENS1_6LayoutINS3_IJNS4_IiLi64EEENS4_IiLi4EEEEEENS0_16TensorDescriptorINS3_IJNS0_5EmbedISC_NS3_IJSB_NS4_IiLi1EEEEEELb0EEEEEENS3_IJNS0_8SequenceIJLi0EEEEEEENS3_IJNSJ_IJLi1ELi2EEEEEEESM_NS4_IlLl256EEEEEEEEvPKvSS_PviiiT2_T3_
	.p2align	8
	.type	_Z10DeviceGemmIDF16_N2ck7wrapper48BlockwisGemmXdlTraits_32x32Xdl_4x2XdlPerWave_8K1ELi8ENS0_5TupleIJNS0_17integral_constantIiLi256EEENS4_IiLi128EEENS4_IiLi32EEEEEENS1_6LayoutINS3_IJNS4_IiLi64EEENS4_IiLi4EEEEEENS0_16TensorDescriptorINS3_IJNS0_5EmbedISC_NS3_IJSB_NS4_IiLi1EEEEEELb0EEEEEENS3_IJNS0_8SequenceIJLi0EEEEEEENS3_IJNSJ_IJLi1ELi2EEEEEEESM_NS4_IlLl256EEEEEEEEvPKvSS_PviiiT2_T3_,@function
_Z10DeviceGemmIDF16_N2ck7wrapper48BlockwisGemmXdlTraits_32x32Xdl_4x2XdlPerWave_8K1ELi8ENS0_5TupleIJNS0_17integral_constantIiLi256EEENS4_IiLi128EEENS4_IiLi32EEEEEENS1_6LayoutINS3_IJNS4_IiLi64EEENS4_IiLi4EEEEEENS0_16TensorDescriptorINS3_IJNS0_5EmbedISC_NS3_IJSB_NS4_IiLi1EEEEEELb0EEEEEENS3_IJNS0_8SequenceIJLi0EEEEEEENS3_IJNSJ_IJLi1ELi2EEEEEEESM_NS4_IlLl256EEEEEEEEvPKvSS_PviiiT2_T3_: ; @_Z10DeviceGemmIDF16_N2ck7wrapper48BlockwisGemmXdlTraits_32x32Xdl_4x2XdlPerWave_8K1ELi8ENS0_5TupleIJNS0_17integral_constantIiLi256EEENS4_IiLi128EEENS4_IiLi32EEEEEENS1_6LayoutINS3_IJNS4_IiLi64EEENS4_IiLi4EEEEEENS0_16TensorDescriptorINS3_IJNS0_5EmbedISC_NS3_IJSB_NS4_IiLi1EEEEEELb0EEEEEENS3_IJNS0_8SequenceIJLi0EEEEEEENS3_IJNSJ_IJLi1ELi2EEEEEEESM_NS4_IlLl256EEEEEEEEvPKvSS_PviiiT2_T3_
; %bb.0:
	s_load_dwordx4 s[16:19], s[4:5], 0x18
	s_add_u32 s26, 0, 0
	v_lshrrev_b32_e32 v132, 1, v0
	v_and_b32_e32 v136, 0x7e, v132
	v_lshlrev_b32_e32 v3, 6, v136
	s_waitcnt lgkmcnt(0)
	s_addc_u32 s27, s16, -1
	s_add_u32 s1, 0, 0
	s_addc_u32 s1, s18, -1
	s_mul_i32 s0, s27, s18
	s_add_i32 s20, s1, 1
	s_add_i32 s12, s20, s0
	s_add_u32 s0, 0, 0
	s_addc_u32 s19, s17, -1
	s_mul_i32 s0, s19, s18
	s_add_i32 s20, s20, s0
	s_add_i32 s0, s16, 0xff
	s_ashr_i32 s1, s0, 31
	s_lshr_b32 s1, s1, 24
	s_add_i32 s0, s0, s1
	s_add_i32 s1, s18, 31
	s_ashr_i32 s2, s1, 31
	s_lshr_b32 s2, s2, 27
	s_add_i32 s1, s1, s2
	s_ashr_i32 s40, s1, 5
	s_add_i32 s1, s17, 0x7f
	s_ashr_i32 s2, s1, 31
	s_lshr_b32 s2, s2, 25
	s_add_i32 s1, s1, s2
	s_ashr_i32 s15, s1, 7
	s_ashr_i32 s1, s1, 31
	v_mov_b32_e32 v1, s1
	v_alignbit_b32 v1, s15, v1, 25
	s_ashr_i32 s14, s0, 31
	s_ashr_i32 s13, s0, 8
	v_readfirstlane_b32 s1, v1
	v_mov_b32_e32 v1, s14
	v_alignbit_b32 v1, s13, v1, 24
	s_add_i32 s21, s1, 0x7f
	v_readfirstlane_b32 s0, v1
	s_ashr_i32 s28, s21, 7
	s_addk_i32 s0, 0xff
	s_mul_i32 s1, s28, s6
	s_ashr_i32 s31, s0, 8
	s_add_i32 s22, s1, s7
	s_mul_i32 s1, s31, s15
	s_abs_i32 s1, s1
	v_cvt_f32_u32_e32 v1, s1
	s_lshr_b32 s0, s31, 29
	s_add_i32 s0, s31, s0
	s_and_b32 s30, s0, -8
	v_rcp_iflag_f32_e32 v1, v1
	s_sub_i32 s29, s31, s30
	s_getpc_b64 s[8:9]
	s_add_u32 s8, s8, _ZN2ck51BlockwiseGemmXdlops_k0mk1_k0nk1_m0n0m1n1m2m3m4n2_v1ILi256EDF16_DF16_fNS_16TensorDescriptorINS_5TupleIJNS_5EmbedINS2_IJNS_17integral_constantIiLi256EEENS4_IiLi32EEEEEENS2_IJS6_NS4_IiLi1EEEEEELb0EEENS_7UnMergeINS2_IJNS4_IiLi4EEENS4_IiLi8EEEEEELb0EEENS_11PassThroughIS5_EEEEENS2_IJNS_8SequenceIJLi0EEEENSJ_IJLi2EEEENSJ_IJLi1EEEEEEENS2_IJNSJ_IJLi1ELi2EEEENSJ_IJLi3ELi4EEEENSJ_IJLi5EEEEEEENSJ_IJLi3ELi5ELi4EEEENS4_IlLl8192EEEEENS1_INS2_IJNS3_INS2_IJNS4_IiLi128EEES6_EEES9_Lb0EEESF_NSG_ISV_EEEEESN_SR_SS_NS4_IlLl4096EEEEELi32ELi32ELi4ELi2ELi8EDF16_DF16_E6MWavesE@rel32@lo+4
	s_addc_u32 s9, s9, _ZN2ck51BlockwiseGemmXdlops_k0mk1_k0nk1_m0n0m1n1m2m3m4n2_v1ILi256EDF16_DF16_fNS_16TensorDescriptorINS_5TupleIJNS_5EmbedINS2_IJNS_17integral_constantIiLi256EEENS4_IiLi32EEEEEENS2_IJS6_NS4_IiLi1EEEEEELb0EEENS_7UnMergeINS2_IJNS4_IiLi4EEENS4_IiLi8EEEEEELb0EEENS_11PassThroughIS5_EEEEENS2_IJNS_8SequenceIJLi0EEEENSJ_IJLi2EEEENSJ_IJLi1EEEEEEENS2_IJNSJ_IJLi1ELi2EEEENSJ_IJLi3ELi4EEEENSJ_IJLi5EEEEEEENSJ_IJLi3ELi5ELi4EEEENS4_IlLl8192EEEEENS1_INS2_IJNS3_INS2_IJNS4_IiLi128EEES6_EEES9_Lb0EEESF_NSG_ISV_EEEEESN_SR_SS_NS4_IlLl4096EEEEELi32ELi32ELi4ELi2ELi8EDF16_DF16_E6MWavesE@rel32@hi+12
	s_getpc_b64 s[10:11]
	s_add_u32 s10, s10, _ZN2ck51BlockwiseGemmXdlops_k0mk1_k0nk1_m0n0m1n1m2m3m4n2_v1ILi256EDF16_DF16_fNS_16TensorDescriptorINS_5TupleIJNS_5EmbedINS2_IJNS_17integral_constantIiLi256EEENS4_IiLi32EEEEEENS2_IJS6_NS4_IiLi1EEEEEELb0EEENS_7UnMergeINS2_IJNS4_IiLi4EEENS4_IiLi8EEEEEELb0EEENS_11PassThroughIS5_EEEEENS2_IJNS_8SequenceIJLi0EEEENSJ_IJLi2EEEENSJ_IJLi1EEEEEEENS2_IJNSJ_IJLi1ELi2EEEENSJ_IJLi3ELi4EEEENSJ_IJLi5EEEEEEENSJ_IJLi3ELi5ELi4EEEENS4_IlLl8192EEEEENS1_INS2_IJNS3_INS2_IJNS4_IiLi128EEES6_EEES9_Lb0EEESF_NSG_ISV_EEEEESN_SR_SS_NS4_IlLl4096EEEEELi32ELi32ELi4ELi2ELi8EDF16_DF16_E6NWavesE@rel32@lo+4
	s_addc_u32 s11, s11, _ZN2ck51BlockwiseGemmXdlops_k0mk1_k0nk1_m0n0m1n1m2m3m4n2_v1ILi256EDF16_DF16_fNS_16TensorDescriptorINS_5TupleIJNS_5EmbedINS2_IJNS_17integral_constantIiLi256EEENS4_IiLi32EEEEEENS2_IJS6_NS4_IiLi1EEEEEELb0EEENS_7UnMergeINS2_IJNS4_IiLi4EEENS4_IiLi8EEEEEELb0EEENS_11PassThroughIS5_EEEEENS2_IJNS_8SequenceIJLi0EEEENSJ_IJLi2EEEENSJ_IJLi1EEEEEEENS2_IJNSJ_IJLi1ELi2EEEENSJ_IJLi3ELi4EEEENSJ_IJLi5EEEEEEENSJ_IJLi3ELi5ELi4EEEENS4_IlLl8192EEEEENS1_INS2_IJNS3_INS2_IJNS4_IiLi128EEES6_EEES9_Lb0EEESF_NSG_ISV_EEEEESN_SR_SS_NS4_IlLl4096EEEEELi32ELi32ELi4ELi2ELi8EDF16_DF16_E6NWavesE@rel32@hi+12
	v_mul_f32_e32 v1, 0x4f7ffffe, v1
	v_cvt_u32_f32_e32 v1, v1
	s_sub_i32 s2, 0, s1
	s_mul_i32 s0, s15, s6
	s_add_i32 s0, s0, s7
	v_readfirstlane_b32 s3, v1
	s_mul_i32 s2, s2, s3
	s_mul_hi_u32 s2, s3, s2
	s_ashr_i32 s6, s0, 31
	s_abs_i32 s0, s0
	s_add_i32 s3, s3, s2
	s_mul_hi_u32 s2, s0, s3
	s_mul_i32 s2, s2, s1
	s_sub_i32 s0, s0, s2
	s_sub_i32 s2, s0, s1
	s_cmp_ge_u32 s0, s1
	s_cselect_b32 s0, s2, s0
	s_sub_i32 s2, s0, s1
	s_cmp_ge_u32 s0, s1
	s_cselect_b32 s7, s2, s0
	s_abs_i32 s23, s15
	v_cvt_f32_u32_e32 v2, s23
	s_load_dwordx4 s[0:3], s[4:5], 0x0
	s_load_dwordx2 s[24:25], s[4:5], 0x10
	s_xor_b32 s4, s7, s6
	s_sub_i32 s7, 0, s23
	v_rcp_iflag_f32_e32 v2, v2
	s_sub_i32 s4, s4, s6
	s_abs_i32 s6, s4
	s_xor_b32 s5, s4, s15
	v_mul_f32_e32 v2, 0x4f7ffffe, v2
	v_cvt_u32_f32_e32 v2, v2
	s_ashr_i32 s5, s5, 31
	v_and_b32_e32 v1, 63, v0
	v_and_b32_e32 v131, 32, v0
	v_readfirstlane_b32 s33, v2
	s_mul_i32 s7, s7, s33
	s_mul_hi_u32 s7, s33, s7
	s_add_i32 s33, s33, s7
	s_mul_hi_u32 s7, s6, s33
	s_mul_i32 s33, s7, s23
	s_sub_i32 s6, s6, s33
	s_add_i32 s33, s7, 1
	s_sub_i32 s34, s6, s23
	s_cmp_ge_u32 s6, s23
	s_cselect_b32 s7, s33, s7
	s_cselect_b32 s6, s34, s6
	s_add_i32 s33, s7, 1
	s_cmp_ge_u32 s6, s23
	s_cselect_b32 s6, s33, s7
	s_xor_b32 s6, s6, s5
	s_sub_i32 s5, s6, s5
	s_cmp_ge_i32 s5, s30
	s_cselect_b32 s6, s29, 8
	s_abs_i32 s6, s6
	v_cvt_f32_u32_e32 v2, s6
	s_mul_i32 s7, s5, s15
	s_sub_i32 s4, s4, s7
	s_ashr_i32 s7, s5, 31
	v_rcp_iflag_f32_e32 v2, v2
	s_lshr_b32 s7, s7, 29
	s_add_i32 s7, s5, s7
	s_and_b32 s7, s7, -8
	v_mul_f32_e32 v2, 0x4f7ffffe, v2
	v_cvt_u32_f32_e32 v2, v2
	s_sub_i32 s5, s5, s7
	s_mul_i32 s5, s5, s15
	s_sub_i32 s15, 0, s6
	v_readfirstlane_b32 s23, v2
	s_mul_i32 s15, s15, s23
	s_add_i32 s5, s5, s4
	s_mul_hi_u32 s15, s23, s15
	s_ashr_i32 s4, s5, 31
	s_abs_i32 s5, s5
	s_add_i32 s23, s23, s15
	s_mul_hi_u32 s15, s5, s23
	s_mul_i32 s15, s15, s6
	s_sub_i32 s5, s5, s15
	s_sub_i32 s15, s5, s6
	s_cmp_ge_u32 s5, s6
	s_cselect_b32 s5, s15, s5
	s_sub_i32 s15, s5, s6
	s_cmp_ge_u32 s5, s6
	s_mul_i32 s6, s28, s13
	s_cselect_b32 s5, s15, s5
	s_abs_i32 s6, s6
	v_cvt_f32_u32_e32 v2, s6
	s_xor_b32 s5, s5, s4
	s_sub_i32 s4, s5, s4
	s_add_i32 s7, s7, s4
	v_rcp_iflag_f32_e32 v2, v2
	s_lshl_b32 s4, s7, 8
	s_sub_i32 s5, 0, s6
	s_abs_i32 s37, s22
	v_mul_f32_e32 v2, 0x4f7ffffe, v2
	v_cvt_u32_f32_e32 v2, v2
	s_ashr_i32 s35, s22, 31
	s_load_dword s33, s[8:9], 0x0
	s_load_dword s34, s[10:11], 0x0
	v_and_b32_e32 v133, 0xfc, v0
	v_readfirstlane_b32 s7, v2
	s_mul_i32 s5, s5, s7
	s_mul_hi_u32 s5, s7, s5
	s_add_i32 s7, s7, s5
	s_mul_hi_u32 s5, s37, s7
	s_mul_i32 s5, s5, s6
	s_sub_i32 s5, s37, s5
	s_sub_i32 s7, s5, s6
	s_cmp_ge_u32 s5, s6
	s_cselect_b32 s5, s7, s5
	s_sub_i32 s7, s5, s6
	s_cmp_ge_u32 s5, s6
	s_cselect_b32 s5, s7, s5
	s_abs_i32 s36, s28
	v_cvt_f32_u32_e32 v2, s36
	s_sub_i32 s8, 0, s36
	s_xor_b32 s5, s5, s35
	s_sub_i32 s5, s5, s35
	v_rcp_iflag_f32_e32 v2, v2
	s_abs_i32 s7, s5
	s_ashr_i32 s6, s5, 31
	s_ashr_i32 s38, s21, 31
	v_mul_f32_e32 v2, 0x4f7ffffe, v2
	v_cvt_u32_f32_e32 v2, v2
	s_xor_b32 s6, s6, s38
	v_and_b32_e32 v4, 32, v132
	s_mov_b32 s15, 0x20000
	v_readfirstlane_b32 s9, v2
	s_mul_i32 s8, s8, s9
	s_mul_hi_u32 s8, s9, s8
	s_add_i32 s39, s9, s8
	s_mul_hi_u32 s8, s7, s39
	s_mul_i32 s9, s8, s36
	s_sub_i32 s7, s7, s9
	s_add_i32 s9, s8, 1
	s_sub_i32 s10, s7, s36
	s_cmp_ge_u32 s7, s36
	s_cselect_b32 s8, s9, s8
	s_cselect_b32 s7, s10, s7
	s_add_i32 s9, s8, 1
	s_cmp_ge_u32 s7, s36
	s_cselect_b32 s7, s9, s8
	s_xor_b32 s7, s7, s6
	s_sub_i32 s6, s7, s6
	s_lshr_b32 s7, s14, 29
	s_add_i32 s7, s13, s7
	s_and_b32 s7, s7, -8
	s_sub_i32 s8, s13, s7
	s_cmp_ge_i32 s6, s7
	s_cselect_b32 s7, s8, 8
	s_abs_i32 s9, s7
	v_cvt_f32_u32_e32 v2, s9
	s_mul_i32 s8, s6, s28
	s_sub_i32 s5, s5, s8
	s_ashr_i32 s8, s6, 31
	v_rcp_iflag_f32_e32 v2, v2
	s_lshr_b32 s8, s8, 29
	s_add_i32 s8, s6, s8
	s_and_b32 s8, s8, -8
	v_mul_f32_e32 v2, 0x4f7ffffe, v2
	v_cvt_u32_f32_e32 v2, v2
	s_sub_i32 s6, s6, s8
	s_mul_i32 s6, s6, s28
	s_add_i32 s6, s6, s5
	s_xor_b32 s5, s6, s7
	s_sub_i32 s7, 0, s9
	v_readfirstlane_b32 s8, v2
	s_mul_i32 s7, s7, s8
	s_mul_hi_u32 s7, s8, s7
	s_abs_i32 s6, s6
	s_add_i32 s8, s8, s7
	s_mul_hi_u32 s7, s6, s8
	s_mul_i32 s8, s7, s9
	s_sub_i32 s6, s6, s8
	s_ashr_i32 s5, s5, 31
	s_add_i32 s8, s7, 1
	s_sub_i32 s10, s6, s9
	s_cmp_ge_u32 s6, s9
	s_cselect_b32 s7, s8, s7
	s_cselect_b32 s6, s10, s6
	s_add_i32 s8, s7, 1
	v_lshlrev_b32_e32 v2, 3, v0
	s_cmp_ge_u32 s6, s9
	v_and_b32_e32 v134, 24, v2
	s_cselect_b32 s6, s8, s7
	s_lshl_b32 s14, s12, 1
	s_waitcnt lgkmcnt(0)
	s_mov_b32 s12, s0
	v_lshlrev_b32_e32 v2, 1, v134
	s_movk_i32 s0, 0x4000
	v_or3_b32 v137, v3, v2, s0
	v_lshrrev_b32_e32 v3, 2, v0
	v_lshl_or_b32 v135, v133, 6, v2
	v_sub_u32_e32 v2, v1, v131
	v_and_b32_e32 v3, 32, v3
	s_xor_b32 s6, s6, s5
	v_add_u32_e32 v3, v2, v3
	v_add_u32_e32 v2, v4, v2
	s_sub_i32 s5, s6, s5
	v_lshl_or_b32 v2, v2, 6, v131
	s_lshl_b32 s5, s5, 7
	v_add_u32_e32 v139, 0x4000, v2
	v_and_b32_e32 v2, 3, v0
	v_mov_b32_e32 v114, 0
	s_mov_b32 s13, s1
	s_lshl_b32 s22, s20, 1
	s_mov_b32 s20, s2
	s_mov_b32 s21, s3
	;; [unrolled: 1-line block ×3, first 2 shown]
	v_lshl_or_b32 v138, v3, 6, v131
	s_max_i32 s40, s40, 1
	s_lshl_b32 s41, s18, 1
	v_or_b32_e32 v140, 3, v133
	v_lshlrev_b32_e32 v130, 4, v2
	v_or_b32_e32 v141, 2, v133
	v_or_b32_e32 v142, 1, v133
	;; [unrolled: 1-line block ×3, first 2 shown]
	v_mov_b32_e32 v144, s4
	v_mov_b32_e32 v145, s5
	;; [unrolled: 1-line block ×129, first 2 shown]
.LBB1_1:                                ; =>This Inner Loop Header: Depth=1
	v_readfirstlane_b32 s0, v144
	v_readfirstlane_b32 s1, v145
	v_add_u32_e32 v148, s0, v133
	v_add_u32_e32 v149, s0, v142
	;; [unrolled: 1-line block ×6, first 2 shown]
	v_mad_u64_u32 v[146:147], s[2:3], s41, v148, v[130:131]
	v_mad_u64_u32 v[150:151], s[2:3], s41, v149, v[130:131]
	;; [unrolled: 1-line block ×6, first 2 shown]
	v_cmp_gt_i32_e64 s[0:1], s16, v148
	v_add_u32_e32 v170, 1, v148
	v_add_u32_e32 v171, 2, v148
	;; [unrolled: 1-line block ×3, first 2 shown]
	v_cmp_gt_i32_e64 s[2:3], s17, v156
	v_add_u32_e32 v173, 1, v156
	buffer_load_dwordx4 v[146:149], v146, s[12:15], 0 offen
	s_nop 0
	buffer_load_dwordx4 v[150:153], v150, s[12:15], 0 offen
	s_nop 0
	;; [unrolled: 2-line block ×5, first 2 shown]
	buffer_load_dwordx4 v[166:169], v166, s[20:23], 0 offen
	v_cmp_gt_i32_e32 vcc, s18, v134
	v_cmp_gt_i32_e64 s[4:5], s16, v170
	v_cmp_gt_i32_e64 s[6:7], s16, v171
	v_cmp_gt_i32_e64 s[8:9], s16, v172
	v_cmp_gt_i32_e64 s[10:11], s17, v173
	s_and_b64 s[2:3], s[2:3], vcc
	s_and_b64 s[0:1], s[0:1], vcc
	;; [unrolled: 1-line block ×5, first 2 shown]
	s_and_b64 vcc, s[10:11], vcc
	s_add_i32 s40, s40, -1
	v_add_u32_e32 v134, 32, v134
	s_cmp_lg_u32 s40, 0
	v_add_u32_e32 v130, 64, v130
	s_waitcnt vmcnt(5)
	v_cndmask_b32_e64 v149, 0, v149, s[0:1]
	v_cndmask_b32_e64 v148, 0, v148, s[0:1]
	v_cndmask_b32_e64 v147, 0, v147, s[0:1]
	v_cndmask_b32_e64 v146, 0, v146, s[0:1]
	s_waitcnt vmcnt(4)
	v_cndmask_b32_e64 v153, 0, v153, s[4:5]
	v_cndmask_b32_e64 v152, 0, v152, s[4:5]
	v_cndmask_b32_e64 v151, 0, v151, s[4:5]
	v_cndmask_b32_e64 v150, 0, v150, s[4:5]
	;; [unrolled: 5-line block ×5, first 2 shown]
	s_waitcnt vmcnt(0)
	v_cndmask_b32_e32 v169, 0, v169, vcc
	v_cndmask_b32_e32 v168, 0, v168, vcc
	;; [unrolled: 1-line block ×4, first 2 shown]
	ds_write_b128 v135, v[146:149]
	ds_write_b128 v135, v[150:153] offset:64
	ds_write_b128 v135, v[154:157] offset:128
	;; [unrolled: 1-line block ×3, first 2 shown]
	ds_write_b128 v137, v[162:165]
	ds_write_b128 v137, v[166:169] offset:64
	s_waitcnt lgkmcnt(0)
	s_barrier
	ds_read_b128 v[146:149], v138
	ds_read_b128 v[150:153], v139
	ds_read_b128 v[154:157], v138 offset:16
	ds_read_b128 v[158:161], v139 offset:16
	;; [unrolled: 1-line block ×10, first 2 shown]
	s_waitcnt lgkmcnt(10)
	v_mfma_f32_32x32x8f16 v[114:129], v[146:147], v[150:151], v[114:129]
	s_waitcnt lgkmcnt(7)
	v_mfma_f32_32x32x8f16 v[98:113], v[146:147], v[162:163], v[98:113]
	;; [unrolled: 2-line block ×3, first 2 shown]
	v_mfma_f32_32x32x8f16 v[82:97], v[170:171], v[162:163], v[82:97]
	s_waitcnt lgkmcnt(3)
	v_mfma_f32_32x32x8f16 v[50:65], v[178:179], v[150:151], v[50:65]
	v_mfma_f32_32x32x8f16 v[34:49], v[178:179], v[162:163], v[34:49]
	s_waitcnt lgkmcnt(1)
	v_mfma_f32_32x32x8f16 v[2:17], v[186:187], v[150:151], v[2:17]
	v_mfma_f32_32x32x8f16 v[18:33], v[186:187], v[162:163], v[18:33]
	;; [unrolled: 1-line block ×16, first 2 shown]
	s_waitcnt lgkmcnt(0)
	v_mfma_f32_32x32x8f16 v[2:17], v[190:191], v[158:159], v[2:17]
	v_mfma_f32_32x32x8f16 v[18:33], v[190:191], v[166:167], v[18:33]
	;; [unrolled: 1-line block ×10, first 2 shown]
	s_cbranch_scc1 .LBB1_1
; %bb.2:
	s_mul_i32 s0, s28, s31
	s_abs_i32 s0, s0
	v_cvt_f32_u32_e32 v130, s0
	s_sub_i32 s1, 0, s0
	s_mul_i32 s27, s27, s17
	s_mov_b32 s23, 0x20000
	v_rcp_iflag_f32_e32 v130, v130
	s_mov_b32 s20, s24
	s_mov_b32 s21, s25
	s_nop 1
	v_cvt_f16_f32_e32 v115, v115
	v_mul_f32_e32 v130, 0x4f7ffffe, v130
	v_cvt_u32_f32_e32 v130, v130
	v_cvt_f16_f32_e32 v116, v116
	v_cvt_f16_f32_e32 v117, v117
	;; [unrolled: 1-line block ×3, first 2 shown]
	v_readfirstlane_b32 s2, v130
	s_mul_i32 s1, s1, s2
	s_mul_hi_u32 s1, s2, s1
	s_add_i32 s2, s2, s1
	s_mul_hi_u32 s1, s37, s2
	s_mul_i32 s1, s1, s0
	s_sub_i32 s1, s37, s1
	s_sub_i32 s2, s1, s0
	s_cmp_ge_u32 s1, s0
	s_cselect_b32 s1, s2, s1
	s_sub_i32 s2, s1, s0
	s_cmp_ge_u32 s1, s0
	s_cselect_b32 s0, s2, s1
	s_xor_b32 s0, s0, s35
	s_sub_i32 s0, s0, s35
	s_abs_i32 s2, s0
	s_mul_hi_u32 s3, s2, s39
	s_mul_i32 s4, s3, s36
	s_ashr_i32 s1, s0, 31
	s_sub_i32 s2, s2, s4
	s_xor_b32 s1, s1, s38
	s_add_i32 s5, s3, 1
	s_sub_i32 s4, s2, s36
	s_cmp_ge_u32 s2, s36
	s_cselect_b32 s3, s5, s3
	s_cselect_b32 s2, s4, s2
	s_add_i32 s4, s3, 1
	s_cmp_ge_u32 s2, s36
	s_cselect_b32 s2, s4, s3
	s_xor_b32 s2, s2, s1
	s_sub_i32 s1, s2, s1
	s_ashr_i32 s2, s1, 31
	s_lshr_b32 s2, s2, 29
	s_add_i32 s2, s1, s2
	s_and_b32 s2, s2, -8
	s_mul_i32 s3, s1, s28
	s_sub_i32 s2, s1, s2
	s_sub_i32 s0, s0, s3
	s_mul_i32 s3, s2, s28
	s_add_i32 s3, s3, s0
	s_cmp_ge_i32 s1, s30
	s_cselect_b32 s0, s29, 8
	s_abs_i32 s4, s0
	v_cvt_f32_u32_e32 v130, s4
	s_sub_i32 s8, 0, s4
	s_abs_i32 s6, s3
	s_xor_b32 s7, s3, s0
	v_rcp_iflag_f32_e32 v130, v130
	s_ashr_i32 s7, s7, 31
	s_mul_hi_u32 s5, s26, s17
	v_cvt_f16_f32_e32 v120, v120
	v_mul_f32_e32 v130, 0x4f7ffffe, v130
	v_cvt_u32_f32_e32 v130, v130
	v_cvt_f16_f32_e32 v119, v119
	v_cvt_f16_f32_e32 v118, v118
	v_cvt_f16_f32_e32 v122, v122
	v_readfirstlane_b32 s9, v130
	s_mul_i32 s8, s8, s9
	s_mul_hi_u32 s8, s9, s8
	s_add_i32 s9, s9, s8
	s_mul_hi_u32 s8, s6, s9
	s_mul_i32 s9, s8, s4
	s_sub_i32 s6, s6, s9
	s_add_i32 s10, s8, 1
	s_sub_i32 s9, s6, s4
	s_cmp_ge_u32 s6, s4
	s_cselect_b32 s8, s10, s8
	s_cselect_b32 s6, s9, s6
	s_add_i32 s9, s8, 1
	s_cmp_ge_u32 s6, s4
	s_cselect_b32 s4, s9, s8
	s_xor_b32 s4, s4, s7
	s_sub_i32 s4, s4, s7
	s_lshl_b32 s6, s4, 7
	s_mul_i32 s4, s4, s0
	s_sub_i32 s0, s3, s4
	s_add_i32 s0, s0, s1
	v_lshrrev_b32_e32 v130, 3, v0
	v_lshrrev_b32_e32 v0, 7, v0
	s_sub_i32 s0, s0, s2
	v_lshlrev_b32_e32 v133, 5, v0
	s_lshl_b32 s2, s0, 8
	v_and_or_b32 v130, v130, 4, v133
	v_lshl_or_b32 v0, v0, 6, v131
	v_add_u32_e32 v133, s2, v130
	v_and_b32_e32 v130, 0x60, v132
	v_sub_u32_e32 v0, v1, v0
	v_add3_u32 v0, v0, v130, s6
	s_lshl_b32 s15, s34, 5
	v_lshrrev_b32_e32 v1, 6, v0
	v_and_b32_e32 v0, 63, v0
	v_mad_u64_u32 v[130:131], s[0:1], s15, v1, v[0:1]
	v_and_b32_e32 v0, 60, v133
	s_lshl_b32 s18, s33, 5
	v_lshrrev_b32_e32 v134, 6, v133
	v_and_or_b32 v0, s2, 3, v0
	v_mad_u64_u32 v[132:133], s[0:1], s18, v134, v[0:1]
	s_add_i32 s5, s5, s27
	v_mad_u64_u32 v[134:135], s[0:1], v132, s17, v[130:131]
	v_cvt_f16_f32_e32 v1, v114
	v_cmp_gt_i32_e32 vcc, s17, v130
	v_cmp_gt_i32_e64 s[2:3], s16, v132
	s_add_i32 s5, s5, s19
	v_bfrev_b32_e32 v0, 1
	s_and_b64 s[0:1], s[2:3], vcc
	s_lshl_b32 s4, s5, 1
	v_cndmask_b32_e64 v114, v0, 0, s[0:1]
	s_add_i32 s22, s4, 2
	v_lshl_add_u32 v114, v134, 1, v114
	buffer_store_short v1, v114, s[20:23], 0 offen
	v_add_u32_e32 v1, 1, v132
	v_cmp_gt_i32_e64 s[0:1], s16, v1
	s_and_b64 s[0:1], s[0:1], vcc
	v_add_u32_e32 v114, s17, v134
	v_cndmask_b32_e64 v1, v0, 0, s[0:1]
	v_lshl_add_u32 v1, v114, 1, v1
	buffer_store_short v115, v1, s[20:23], 0 offen
	v_add_u32_e32 v1, 2, v132
	v_cmp_gt_i32_e64 s[0:1], s16, v1
	s_and_b64 s[0:1], s[0:1], vcc
	v_add_u32_e32 v115, s17, v114
	v_cndmask_b32_e64 v131, v0, 0, s[0:1]
	;; [unrolled: 7-line block ×3, first 2 shown]
	v_lshl_add_u32 v133, v131, 1, v133
	buffer_store_short v117, v133, s[20:23], 0 offen
	v_add_u32_e32 v117, 11, v132
	v_cmp_gt_i32_e64 s[6:7], s16, v117
	s_lshl_b32 s14, s17, 3
	s_and_b64 s[0:1], s[6:7], vcc
	v_add_u32_e32 v131, s14, v131
	v_cndmask_b32_e64 v133, v0, 0, s[0:1]
	v_cmp_ge_i32_e64 s[0:1], s16, v117
	v_lshl_add_u32 v133, v131, 1, v133
	s_and_b64 s[0:1], s[0:1], vcc
	buffer_store_short v121, v133, s[20:23], 0 offen
	v_add_u32_e32 v121, 10, v132
	v_add_u32_e32 v115, s14, v115
	v_cndmask_b32_e64 v117, v0, 0, s[0:1]
	v_lshl_add_u32 v117, v115, 1, v117
	v_cmp_ge_i32_e64 s[0:1], s16, v121
	buffer_store_short v120, v117, s[20:23], 0 offen
	v_add_u32_e32 v117, 9, v132
	s_and_b64 s[0:1], s[0:1], vcc
	v_add_u32_e32 v114, s14, v114
	v_cndmask_b32_e64 v120, v0, 0, s[0:1]
	v_cmp_ge_i32_e64 s[0:1], s16, v117
	v_lshl_add_u32 v120, v114, 1, v120
	s_and_b64 s[0:1], s[0:1], vcc
	buffer_store_short v119, v120, s[20:23], 0 offen
	v_add_u32_e32 v120, s14, v134
	v_cndmask_b32_e64 v133, v0, 0, s[0:1]
	v_lshl_add_u32 v133, v120, 1, v133
	buffer_store_short v118, v133, s[20:23], 0 offen
	v_add_u32_e32 v118, 16, v132
	v_cmp_gt_i32_e64 s[0:1], s16, v118
	s_and_b64 s[0:1], s[0:1], vcc
	v_add_u32_e32 v120, s14, v120
	v_cndmask_b32_e64 v118, v0, 0, s[0:1]
	v_lshl_add_u32 v118, v120, 1, v118
	buffer_store_short v122, v118, s[20:23], 0 offen
	v_add_u32_e32 v118, 17, v132
	v_cvt_f16_f32_e32 v120, v123
	v_cmp_gt_i32_e64 s[0:1], s16, v118
	s_and_b64 s[0:1], s[0:1], vcc
	v_add_u32_e32 v114, s14, v114
	v_cndmask_b32_e64 v122, v0, 0, s[0:1]
	v_lshl_add_u32 v114, v114, 1, v122
	buffer_store_short v120, v114, s[20:23], 0 offen
	v_add_u32_e32 v114, 18, v132
	v_cvt_f16_f32_e32 v120, v124
	;; [unrolled: 8-line block ×4, first 2 shown]
	v_cmp_gt_i32_e64 s[10:11], s16, v122
	s_and_b64 s[0:1], s[10:11], vcc
	v_add_u32_e32 v123, s14, v120
	v_cndmask_b32_e64 v125, v0, 0, s[0:1]
	v_cvt_f16_f32_e32 v128, v128
	v_cmp_ge_i32_e64 s[0:1], s16, v122
	v_lshl_add_u32 v125, v123, 1, v125
	s_and_b64 s[0:1], s[0:1], vcc
	buffer_store_short v124, v125, s[20:23], 0 offen
	v_add_u32_e32 v124, 26, v132
	v_subrev_u32_e32 v125, s17, v123
	v_cndmask_b32_e64 v122, v0, 0, s[0:1]
	v_lshl_add_u32 v122, v125, 1, v122
	v_cvt_f16_f32_e32 v127, v127
	v_cmp_ge_i32_e64 s[0:1], s16, v124
	buffer_store_short v128, v122, s[20:23], 0 offen
	v_add_u32_e32 v122, 25, v132
	s_and_b64 s[0:1], s[0:1], vcc
	v_subrev_u32_e32 v128, s17, v125
	v_cndmask_b32_e64 v129, v0, 0, s[0:1]
	v_cvt_f16_f32_e32 v126, v126
	v_cmp_ge_i32_e64 s[0:1], s16, v122
	v_lshl_add_u32 v129, v128, 1, v129
	s_and_b64 s[0:1], s[0:1], vcc
	buffer_store_short v127, v129, s[20:23], 0 offen
	v_subrev_u32_e32 v129, s17, v128
	v_cndmask_b32_e64 v131, v0, 0, s[0:1]
	v_lshl_add_u32 v131, v129, 1, v131
	v_add_u32_e32 v127, 24, v132
	buffer_store_short v126, v131, s[20:23], 0 offen
	v_add_u32_e32 v126, s15, v130
	v_cvt_f16_f32_e32 v110, v110
	v_cmp_gt_i32_e64 s[0:1], s17, v126
	v_cmp_gt_i32_e64 s[12:13], s16, v127
	s_and_b64 s[12:13], s[12:13], s[0:1]
	v_add_u32_e32 v129, s15, v129
	v_cndmask_b32_e64 v126, v0, 0, s[12:13]
	v_cvt_f16_f32_e32 v111, v111
	v_cmp_gt_i32_e64 s[12:13], s16, v122
	v_lshl_add_u32 v126, v129, 1, v126
	s_and_b64 s[12:13], s[12:13], s[0:1]
	buffer_store_short v110, v126, s[20:23], 0 offen
	v_add_u32_e32 v110, s15, v128
	v_cndmask_b32_e64 v122, v0, 0, s[12:13]
	v_lshl_add_u32 v110, v110, 1, v122
	buffer_store_short v111, v110, s[20:23], 0 offen
	v_cvt_f16_f32_e32 v111, v112
	v_cmp_gt_i32_e64 s[12:13], s16, v124
	s_and_b64 s[12:13], s[12:13], s[0:1]
	v_add_u32_e32 v110, s15, v125
	v_cndmask_b32_e64 v112, v0, 0, s[12:13]
	v_lshl_add_u32 v110, v110, 1, v112
	buffer_store_short v111, v110, s[20:23], 0 offen
	v_cvt_f16_f32_e32 v111, v113
	s_and_b64 s[10:11], s[10:11], s[0:1]
	v_add_u32_e32 v110, s15, v123
	v_cndmask_b32_e64 v112, v0, 0, s[10:11]
	v_cvt_f16_f32_e32 v109, v109
	v_lshl_add_u32 v112, v110, 1, v112
	s_and_b64 s[8:9], s[8:9], s[0:1]
	buffer_store_short v111, v112, s[20:23], 0 offen
	v_add_u32_e32 v111, s15, v120
	v_cndmask_b32_e64 v112, v0, 0, s[8:9]
	v_cvt_f16_f32_e32 v108, v108
	v_cmp_ge_i32_e64 s[8:9], s16, v115
	v_lshl_add_u32 v112, v111, 1, v112
	s_and_b64 s[8:9], s[8:9], s[0:1]
	buffer_store_short v109, v112, s[20:23], 0 offen
	v_subrev_u32_e32 v109, s17, v111
	v_cndmask_b32_e64 v112, v0, 0, s[8:9]
	v_cvt_f16_f32_e32 v107, v107
	v_cmp_ge_i32_e64 s[8:9], s16, v114
	v_lshl_add_u32 v112, v109, 1, v112
	s_and_b64 s[8:9], s[8:9], s[0:1]
	buffer_store_short v108, v112, s[20:23], 0 offen
	v_subrev_u32_e32 v108, s17, v109
	v_cndmask_b32_e64 v109, v0, 0, s[8:9]
	v_cvt_f16_f32_e32 v106, v106
	v_cmp_ge_i32_e64 s[8:9], s16, v118
	v_add_u32_e32 v119, 8, v132
	v_lshl_add_u32 v109, v108, 1, v109
	s_and_b64 s[8:9], s[8:9], s[0:1]
	buffer_store_short v107, v109, s[20:23], 0 offen
	v_subrev_u32_e32 v107, s17, v108
	v_cndmask_b32_e64 v108, v0, 0, s[8:9]
	v_cvt_f16_f32_e32 v102, v102
	v_cmp_gt_i32_e64 s[8:9], s16, v119
	v_lshl_add_u32 v108, v107, 1, v108
	s_and_b64 s[8:9], s[8:9], s[0:1]
	buffer_store_short v106, v108, s[20:23], 0 offen
	v_subrev_u32_e32 v106, s14, v107
	v_cndmask_b32_e64 v107, v0, 0, s[8:9]
	v_cvt_f16_f32_e32 v103, v103
	v_cmp_gt_i32_e64 s[8:9], s16, v117
	v_lshl_add_u32 v107, v106, 1, v107
	s_and_b64 s[8:9], s[8:9], s[0:1]
	buffer_store_short v102, v107, s[20:23], 0 offen
	v_add_u32_e32 v102, s17, v106
	v_cndmask_b32_e64 v107, v0, 0, s[8:9]
	v_cvt_f16_f32_e32 v104, v104
	v_cmp_gt_i32_e64 s[8:9], s16, v121
	v_lshl_add_u32 v107, v102, 1, v107
	s_and_b64 s[8:9], s[8:9], s[0:1]
	buffer_store_short v103, v107, s[20:23], 0 offen
	v_add_u32_e32 v103, s17, v102
	v_cndmask_b32_e64 v107, v0, 0, s[8:9]
	v_cvt_f16_f32_e32 v105, v105
	v_lshl_add_u32 v107, v103, 1, v107
	s_and_b64 s[6:7], s[6:7], s[0:1]
	buffer_store_short v104, v107, s[20:23], 0 offen
	v_add_u32_e32 v104, s17, v103
	v_cndmask_b32_e64 v107, v0, 0, s[6:7]
	v_cvt_f16_f32_e32 v101, v101
	v_lshl_add_u32 v107, v104, 1, v107
	s_and_b64 s[4:5], s[4:5], s[0:1]
	buffer_store_short v105, v107, s[20:23], 0 offen
	v_subrev_u32_e32 v105, s14, v104
	v_cndmask_b32_e64 v107, v0, 0, s[4:5]
	v_cvt_f16_f32_e32 v100, v100
	v_cmp_ge_i32_e64 s[4:5], s16, v116
	v_lshl_add_u32 v107, v105, 1, v107
	s_and_b64 s[4:5], s[4:5], s[0:1]
	buffer_store_short v101, v107, s[20:23], 0 offen
	v_subrev_u32_e32 v101, s17, v105
	v_cndmask_b32_e64 v107, v0, 0, s[4:5]
	v_cvt_f16_f32_e32 v99, v99
	v_cmp_ge_i32_e64 s[4:5], s16, v1
	v_lshl_add_u32 v107, v101, 1, v107
	s_and_b64 s[4:5], s[4:5], s[0:1]
	buffer_store_short v100, v107, s[20:23], 0 offen
	v_subrev_u32_e32 v100, s17, v101
	v_cndmask_b32_e64 v1, v0, 0, s[4:5]
	v_cvt_f16_f32_e32 v98, v98
	v_lshl_add_u32 v1, v100, 1, v1
	s_and_b64 s[2:3], s[2:3], s[0:1]
	buffer_store_short v99, v1, s[20:23], 0 offen
	v_subrev_u32_e32 v1, s17, v100
	v_cndmask_b32_e64 v99, v0, 0, s[2:3]
	v_lshl_add_u32 v99, v1, 1, v99
	buffer_store_short v98, v99, s[20:23], 0 offen
	v_add_u32_e32 v98, s18, v132
	v_cvt_f16_f32_e32 v82, v82
	v_cmp_gt_i32_e64 s[2:3], s16, v98
	s_mul_i32 s19, s18, s17
	s_and_b64 s[4:5], s[2:3], s[0:1]
	v_add_u32_e32 v1, s19, v1
	v_cndmask_b32_e64 v99, v0, 0, s[4:5]
	v_lshl_add_u32 v1, v1, 1, v99
	buffer_store_short v82, v1, s[20:23], 0 offen
	v_add_u32_e32 v1, 1, v98
	v_cvt_f16_f32_e32 v83, v83
	v_cmp_gt_i32_e64 s[4:5], s16, v1
	s_and_b64 s[4:5], s[4:5], s[0:1]
	v_add_u32_e32 v82, s19, v100
	v_cndmask_b32_e64 v1, v0, 0, s[4:5]
	v_lshl_add_u32 v1, v82, 1, v1
	buffer_store_short v83, v1, s[20:23], 0 offen
	v_add_u32_e32 v1, 2, v98
	v_cvt_f16_f32_e32 v83, v84
	v_cmp_gt_i32_e64 s[4:5], s16, v1
	;; [unrolled: 8-line block ×4, first 2 shown]
	s_and_b64 s[8:9], s[6:7], s[0:1]
	v_add_u32_e32 v84, s19, v104
	v_cndmask_b32_e64 v89, v0, 0, s[8:9]
	v_cvt_f16_f32_e32 v88, v88
	v_cmp_ge_i32_e64 s[8:9], s16, v83
	v_lshl_add_u32 v84, v84, 1, v89
	s_and_b64 s[8:9], s[8:9], s[0:1]
	buffer_store_short v85, v84, s[20:23], 0 offen
	v_add_u32_e32 v84, 10, v98
	v_add_u32_e32 v85, s19, v103
	v_cndmask_b32_e64 v83, v0, 0, s[8:9]
	v_lshl_add_u32 v83, v85, 1, v83
	v_cvt_f16_f32_e32 v87, v87
	v_cmp_ge_i32_e64 s[8:9], s16, v84
	buffer_store_short v88, v83, s[20:23], 0 offen
	v_add_u32_e32 v83, 9, v98
	s_and_b64 s[8:9], s[8:9], s[0:1]
	v_add_u32_e32 v88, s19, v102
	v_cndmask_b32_e64 v89, v0, 0, s[8:9]
	v_cvt_f16_f32_e32 v86, v86
	v_cmp_ge_i32_e64 s[8:9], s16, v83
	v_lshl_add_u32 v89, v88, 1, v89
	s_and_b64 s[8:9], s[8:9], s[0:1]
	buffer_store_short v87, v89, s[20:23], 0 offen
	v_add_u32_e32 v89, s19, v106
	v_cndmask_b32_e64 v99, v0, 0, s[8:9]
	v_lshl_add_u32 v99, v89, 1, v99
	buffer_store_short v86, v99, s[20:23], 0 offen
	v_add_u32_e32 v86, 16, v98
	v_cvt_f16_f32_e32 v90, v90
	v_cmp_gt_i32_e64 s[8:9], s16, v86
	s_and_b64 s[8:9], s[8:9], s[0:1]
	v_add_u32_e32 v89, s14, v89
	v_cndmask_b32_e64 v86, v0, 0, s[8:9]
	v_lshl_add_u32 v86, v89, 1, v86
	buffer_store_short v90, v86, s[20:23], 0 offen
	v_add_u32_e32 v86, 17, v98
	v_cvt_f16_f32_e32 v89, v91
	v_cmp_gt_i32_e64 s[8:9], s16, v86
	s_and_b64 s[8:9], s[8:9], s[0:1]
	;; [unrolled: 8-line block ×5, first 2 shown]
	v_add_u32_e32 v90, s19, v110
	v_cndmask_b32_e64 v92, v0, 0, s[12:13]
	v_cvt_f16_f32_e32 v93, v96
	v_cmp_ge_i32_e64 s[12:13], s16, v89
	v_lshl_add_u32 v92, v90, 1, v92
	s_and_b64 s[12:13], s[12:13], s[0:1]
	buffer_store_short v91, v92, s[20:23], 0 offen
	v_subrev_u32_e32 v92, s17, v90
	v_cndmask_b32_e64 v89, v0, 0, s[12:13]
	v_add_u32_e32 v91, 26, v98
	v_lshl_add_u32 v89, v92, 1, v89
	buffer_store_short v93, v89, s[20:23], 0 offen
	v_cvt_f16_f32_e32 v93, v95
	v_cmp_ge_i32_e64 s[12:13], s16, v91
	s_and_b64 s[12:13], s[12:13], s[0:1]
	v_add_u32_e32 v89, 25, v98
	v_subrev_u32_e32 v92, s17, v92
	v_cndmask_b32_e64 v95, v0, 0, s[12:13]
	v_lshl_add_u32 v95, v92, 1, v95
	v_cmp_ge_i32_e64 s[12:13], s16, v89
	buffer_store_short v93, v95, s[20:23], 0 offen
	v_add_u32_e32 v93, 24, v98
	s_and_b64 s[12:13], s[12:13], s[0:1]
	v_cvt_f16_f32_e32 v94, v94
	v_cndmask_b32_e64 v95, v0, 0, s[12:13]
	v_cvt_f16_f32_e32 v78, v78
	v_cmp_gt_i32_e64 s[12:13], s16, v93
	v_subrev_u32_e32 v92, s17, v92
	s_and_b64 s[12:13], vcc, s[12:13]
	v_lshl_add_u32 v95, v92, 1, v95
	v_subrev_u32_e32 v92, s15, v92
	v_cndmask_b32_e64 v93, v0, 0, s[12:13]
	v_cvt_f16_f32_e32 v79, v79
	v_cmp_gt_i32_e64 s[12:13], s16, v89
	v_lshl_add_u32 v93, v92, 1, v93
	s_and_b64 s[12:13], vcc, s[12:13]
	buffer_store_short v94, v95, s[20:23], 0 offen
	buffer_store_short v78, v93, s[20:23], 0 offen
	v_add_u32_e32 v78, s17, v92
	v_cndmask_b32_e64 v89, v0, 0, s[12:13]
	v_cvt_f16_f32_e32 v80, v80
	v_cmp_gt_i32_e64 s[12:13], s16, v91
	v_lshl_add_u32 v89, v78, 1, v89
	s_and_b64 s[12:13], vcc, s[12:13]
	buffer_store_short v79, v89, s[20:23], 0 offen
	v_add_u32_e32 v79, s17, v78
	v_cndmask_b32_e64 v89, v0, 0, s[12:13]
	v_cvt_f16_f32_e32 v81, v81
	v_lshl_add_u32 v89, v79, 1, v89
	s_and_b64 s[10:11], vcc, s[10:11]
	buffer_store_short v80, v89, s[20:23], 0 offen
	v_add_u32_e32 v80, s17, v79
	v_cndmask_b32_e64 v89, v0, 0, s[10:11]
	v_cvt_f16_f32_e32 v77, v77
	v_lshl_add_u32 v89, v80, 1, v89
	s_and_b64 s[8:9], vcc, s[8:9]
	buffer_store_short v81, v89, s[20:23], 0 offen
	v_subrev_u32_e32 v81, s14, v80
	v_cndmask_b32_e64 v89, v0, 0, s[8:9]
	v_cvt_f16_f32_e32 v76, v76
	v_cmp_ge_i32_e64 s[8:9], s16, v85
	v_lshl_add_u32 v89, v81, 1, v89
	s_and_b64 s[8:9], vcc, s[8:9]
	buffer_store_short v77, v89, s[20:23], 0 offen
	v_subrev_u32_e32 v77, s17, v81
	v_cndmask_b32_e64 v85, v0, 0, s[8:9]
	v_cvt_f16_f32_e32 v75, v75
	v_cmp_ge_i32_e64 s[8:9], s16, v88
	;; [unrolled: 7-line block ×3, first 2 shown]
	v_add_u32_e32 v87, 8, v98
	v_lshl_add_u32 v77, v76, 1, v77
	s_and_b64 s[8:9], vcc, s[8:9]
	buffer_store_short v75, v77, s[20:23], 0 offen
	v_subrev_u32_e32 v75, s17, v76
	v_cndmask_b32_e64 v76, v0, 0, s[8:9]
	v_cvt_f16_f32_e32 v70, v70
	v_cmp_gt_i32_e64 s[8:9], s16, v87
	v_lshl_add_u32 v76, v75, 1, v76
	s_and_b64 s[8:9], vcc, s[8:9]
	buffer_store_short v74, v76, s[20:23], 0 offen
	v_subrev_u32_e32 v74, s14, v75
	v_cndmask_b32_e64 v75, v0, 0, s[8:9]
	v_cvt_f16_f32_e32 v71, v71
	v_cmp_gt_i32_e64 s[8:9], s16, v83
	v_lshl_add_u32 v75, v74, 1, v75
	s_and_b64 s[8:9], vcc, s[8:9]
	buffer_store_short v70, v75, s[20:23], 0 offen
	v_add_u32_e32 v70, s17, v74
	v_cndmask_b32_e64 v75, v0, 0, s[8:9]
	v_cvt_f16_f32_e32 v72, v72
	v_cmp_gt_i32_e64 s[8:9], s16, v84
	v_lshl_add_u32 v75, v70, 1, v75
	s_and_b64 s[8:9], vcc, s[8:9]
	buffer_store_short v71, v75, s[20:23], 0 offen
	v_add_u32_e32 v71, s17, v70
	v_cndmask_b32_e64 v75, v0, 0, s[8:9]
	v_cvt_f16_f32_e32 v73, v73
	v_lshl_add_u32 v75, v71, 1, v75
	s_and_b64 s[6:7], vcc, s[6:7]
	buffer_store_short v72, v75, s[20:23], 0 offen
	v_add_u32_e32 v72, s17, v71
	v_cndmask_b32_e64 v75, v0, 0, s[6:7]
	v_cvt_f16_f32_e32 v69, v69
	v_lshl_add_u32 v75, v72, 1, v75
	s_and_b64 s[4:5], vcc, s[4:5]
	buffer_store_short v73, v75, s[20:23], 0 offen
	v_subrev_u32_e32 v73, s14, v72
	v_cndmask_b32_e64 v75, v0, 0, s[4:5]
	v_cvt_f16_f32_e32 v68, v68
	v_cmp_ge_i32_e64 s[4:5], s16, v82
	v_lshl_add_u32 v75, v73, 1, v75
	s_and_b64 s[4:5], vcc, s[4:5]
	buffer_store_short v69, v75, s[20:23], 0 offen
	v_subrev_u32_e32 v69, s17, v73
	v_cndmask_b32_e64 v75, v0, 0, s[4:5]
	v_cvt_f16_f32_e32 v67, v67
	v_cmp_ge_i32_e64 s[4:5], s16, v1
	v_lshl_add_u32 v75, v69, 1, v75
	s_and_b64 s[4:5], vcc, s[4:5]
	buffer_store_short v68, v75, s[20:23], 0 offen
	v_subrev_u32_e32 v68, s17, v69
	v_cndmask_b32_e64 v1, v0, 0, s[4:5]
	v_cvt_f16_f32_e32 v66, v66
	v_lshl_add_u32 v1, v68, 1, v1
	s_and_b64 s[2:3], s[2:3], vcc
	buffer_store_short v67, v1, s[20:23], 0 offen
	v_subrev_u32_e32 v1, s17, v68
	v_cndmask_b32_e64 v67, v0, 0, s[2:3]
	v_lshl_add_u32 v67, v1, 1, v67
	buffer_store_short v66, v67, s[20:23], 0 offen
	v_add_u32_e32 v66, s18, v98
	v_cvt_f16_f32_e32 v50, v50
	v_cmp_gt_i32_e64 s[2:3], s16, v66
	s_and_b64 s[4:5], vcc, s[2:3]
	v_add_u32_e32 v1, s19, v1
	v_cndmask_b32_e64 v67, v0, 0, s[4:5]
	v_lshl_add_u32 v1, v1, 1, v67
	buffer_store_short v50, v1, s[20:23], 0 offen
	v_add_u32_e32 v1, 1, v66
	v_cvt_f16_f32_e32 v51, v51
	v_cmp_gt_i32_e64 s[4:5], s16, v1
	s_and_b64 s[4:5], vcc, s[4:5]
	v_add_u32_e32 v50, s19, v68
	;; [unrolled: 8-line block ×5, first 2 shown]
	v_cndmask_b32_e64 v57, v0, 0, s[8:9]
	v_cvt_f16_f32_e32 v56, v56
	v_cmp_ge_i32_e64 s[8:9], s16, v51
	v_lshl_add_u32 v52, v52, 1, v57
	s_and_b64 s[8:9], vcc, s[8:9]
	buffer_store_short v53, v52, s[20:23], 0 offen
	v_add_u32_e32 v52, 10, v66
	v_add_u32_e32 v53, s19, v71
	v_cndmask_b32_e64 v51, v0, 0, s[8:9]
	v_lshl_add_u32 v51, v53, 1, v51
	v_cvt_f16_f32_e32 v55, v55
	v_cmp_ge_i32_e64 s[8:9], s16, v52
	buffer_store_short v56, v51, s[20:23], 0 offen
	v_add_u32_e32 v51, 9, v66
	s_and_b64 s[8:9], vcc, s[8:9]
	v_add_u32_e32 v56, s19, v70
	v_cndmask_b32_e64 v57, v0, 0, s[8:9]
	v_cvt_f16_f32_e32 v54, v54
	v_cmp_ge_i32_e64 s[8:9], s16, v51
	v_lshl_add_u32 v57, v56, 1, v57
	s_and_b64 s[8:9], vcc, s[8:9]
	buffer_store_short v55, v57, s[20:23], 0 offen
	v_add_u32_e32 v57, s19, v74
	v_cndmask_b32_e64 v67, v0, 0, s[8:9]
	v_lshl_add_u32 v67, v57, 1, v67
	buffer_store_short v54, v67, s[20:23], 0 offen
	v_add_u32_e32 v54, 16, v66
	v_cvt_f16_f32_e32 v58, v58
	v_cmp_gt_i32_e64 s[8:9], s16, v54
	s_and_b64 s[8:9], vcc, s[8:9]
	v_add_u32_e32 v57, s14, v57
	v_cndmask_b32_e64 v54, v0, 0, s[8:9]
	v_lshl_add_u32 v54, v57, 1, v54
	buffer_store_short v58, v54, s[20:23], 0 offen
	v_add_u32_e32 v54, 17, v66
	v_cvt_f16_f32_e32 v57, v59
	v_cmp_gt_i32_e64 s[8:9], s16, v54
	s_and_b64 s[8:9], vcc, s[8:9]
	;; [unrolled: 8-line block ×5, first 2 shown]
	v_add_u32_e32 v58, s19, v80
	v_cndmask_b32_e64 v60, v0, 0, s[12:13]
	v_lshl_add_u32 v58, v58, 1, v60
	v_cvt_f16_f32_e32 v60, v64
	v_cmp_ge_i32_e64 s[12:13], s16, v57
	buffer_store_short v59, v58, s[20:23], 0 offen
	v_add_u32_e32 v58, 26, v66
	s_and_b64 s[12:13], vcc, s[12:13]
	v_add_u32_e32 v59, s19, v79
	v_cndmask_b32_e64 v57, v0, 0, s[12:13]
	v_cvt_f16_f32_e32 v61, v63
	v_cmp_ge_i32_e64 s[12:13], s16, v58
	v_lshl_add_u32 v57, v59, 1, v57
	s_and_b64 s[12:13], vcc, s[12:13]
	buffer_store_short v60, v57, s[20:23], 0 offen
	v_add_u32_e32 v57, 25, v66
	v_add_u32_e32 v60, s19, v78
	v_cndmask_b32_e64 v63, v0, 0, s[12:13]
	v_lshl_add_u32 v63, v60, 1, v63
	v_cvt_f16_f32_e32 v62, v62
	v_cmp_ge_i32_e64 s[12:13], s16, v57
	buffer_store_short v61, v63, s[20:23], 0 offen
	v_add_u32_e32 v61, 24, v66
	s_and_b64 s[12:13], vcc, s[12:13]
	v_add_u32_e32 v63, s19, v92
	v_cndmask_b32_e64 v64, v0, 0, s[12:13]
	v_cvt_f16_f32_e32 v46, v46
	v_cmp_gt_i32_e64 s[12:13], s16, v61
	v_lshl_add_u32 v64, v63, 1, v64
	s_and_b64 s[12:13], s[0:1], s[12:13]
	buffer_store_short v62, v64, s[20:23], 0 offen
	v_add_u32_e32 v62, s15, v63
	v_cndmask_b32_e64 v61, v0, 0, s[12:13]
	v_cvt_f16_f32_e32 v47, v47
	v_cmp_gt_i32_e64 s[12:13], s16, v57
	v_lshl_add_u32 v61, v62, 1, v61
	s_and_b64 s[12:13], s[0:1], s[12:13]
	buffer_store_short v46, v61, s[20:23], 0 offen
	v_add_u32_e32 v46, s15, v60
	v_cndmask_b32_e64 v57, v0, 0, s[12:13]
	v_lshl_add_u32 v46, v46, 1, v57
	buffer_store_short v47, v46, s[20:23], 0 offen
	v_cvt_f16_f32_e32 v47, v48
	v_cmp_gt_i32_e64 s[12:13], s16, v58
	s_and_b64 s[12:13], s[0:1], s[12:13]
	v_add_u32_e32 v46, s15, v59
	v_cndmask_b32_e64 v48, v0, 0, s[12:13]
	v_lshl_add_u32 v46, v46, 1, v48
	buffer_store_short v47, v46, s[20:23], 0 offen
	v_cvt_f16_f32_e32 v47, v49
	s_and_b64 s[10:11], s[0:1], s[10:11]
	v_add_u32_e32 v46, s19, v90
	v_cndmask_b32_e64 v48, v0, 0, s[10:11]
	v_cvt_f16_f32_e32 v45, v45
	v_lshl_add_u32 v48, v46, 1, v48
	s_and_b64 s[8:9], s[0:1], s[8:9]
	buffer_store_short v47, v48, s[20:23], 0 offen
	v_subrev_u32_e32 v47, s14, v46
	v_cndmask_b32_e64 v48, v0, 0, s[8:9]
	v_cvt_f16_f32_e32 v44, v44
	v_cmp_ge_i32_e64 s[8:9], s16, v53
	v_lshl_add_u32 v48, v47, 1, v48
	s_and_b64 s[8:9], s[0:1], s[8:9]
	buffer_store_short v45, v48, s[20:23], 0 offen
	v_subrev_u32_e32 v45, s17, v47
	v_cndmask_b32_e64 v48, v0, 0, s[8:9]
	v_cvt_f16_f32_e32 v43, v43
	v_cmp_ge_i32_e64 s[8:9], s16, v56
	;; [unrolled: 7-line block ×3, first 2 shown]
	v_add_u32_e32 v55, 8, v66
	v_lshl_add_u32 v45, v44, 1, v45
	s_and_b64 s[8:9], s[0:1], s[8:9]
	buffer_store_short v43, v45, s[20:23], 0 offen
	v_subrev_u32_e32 v43, s17, v44
	v_cndmask_b32_e64 v44, v0, 0, s[8:9]
	v_cvt_f16_f32_e32 v38, v38
	v_cmp_gt_i32_e64 s[8:9], s16, v55
	v_lshl_add_u32 v44, v43, 1, v44
	s_and_b64 s[8:9], s[0:1], s[8:9]
	buffer_store_short v42, v44, s[20:23], 0 offen
	v_subrev_u32_e32 v42, s14, v43
	v_cndmask_b32_e64 v43, v0, 0, s[8:9]
	v_cvt_f16_f32_e32 v39, v39
	v_cmp_gt_i32_e64 s[8:9], s16, v51
	v_lshl_add_u32 v43, v42, 1, v43
	s_and_b64 s[8:9], s[0:1], s[8:9]
	buffer_store_short v38, v43, s[20:23], 0 offen
	v_add_u32_e32 v38, s17, v42
	v_cndmask_b32_e64 v43, v0, 0, s[8:9]
	v_cvt_f16_f32_e32 v40, v40
	v_cmp_gt_i32_e64 s[8:9], s16, v52
	v_lshl_add_u32 v43, v38, 1, v43
	s_and_b64 s[8:9], s[0:1], s[8:9]
	buffer_store_short v39, v43, s[20:23], 0 offen
	v_add_u32_e32 v39, s17, v38
	v_cndmask_b32_e64 v43, v0, 0, s[8:9]
	v_cvt_f16_f32_e32 v41, v41
	v_lshl_add_u32 v43, v39, 1, v43
	s_and_b64 s[6:7], s[0:1], s[6:7]
	buffer_store_short v40, v43, s[20:23], 0 offen
	v_add_u32_e32 v40, s17, v39
	v_cndmask_b32_e64 v43, v0, 0, s[6:7]
	v_cvt_f16_f32_e32 v37, v37
	v_lshl_add_u32 v43, v40, 1, v43
	s_and_b64 s[4:5], s[0:1], s[4:5]
	buffer_store_short v41, v43, s[20:23], 0 offen
	v_subrev_u32_e32 v41, s14, v40
	v_cndmask_b32_e64 v43, v0, 0, s[4:5]
	v_cvt_f16_f32_e32 v36, v36
	v_cmp_ge_i32_e64 s[4:5], s16, v50
	v_lshl_add_u32 v43, v41, 1, v43
	s_and_b64 s[4:5], s[0:1], s[4:5]
	buffer_store_short v37, v43, s[20:23], 0 offen
	v_subrev_u32_e32 v37, s17, v41
	v_cndmask_b32_e64 v43, v0, 0, s[4:5]
	v_cvt_f16_f32_e32 v35, v35
	v_cmp_ge_i32_e64 s[4:5], s16, v1
	v_lshl_add_u32 v43, v37, 1, v43
	s_and_b64 s[4:5], s[0:1], s[4:5]
	buffer_store_short v36, v43, s[20:23], 0 offen
	v_subrev_u32_e32 v36, s17, v37
	v_cndmask_b32_e64 v1, v0, 0, s[4:5]
	v_cvt_f16_f32_e32 v34, v34
	v_lshl_add_u32 v1, v36, 1, v1
	s_and_b64 s[2:3], s[2:3], s[0:1]
	buffer_store_short v35, v1, s[20:23], 0 offen
	v_subrev_u32_e32 v1, s17, v36
	v_cndmask_b32_e64 v35, v0, 0, s[2:3]
	v_lshl_add_u32 v35, v1, 1, v35
	buffer_store_short v34, v35, s[20:23], 0 offen
	v_add_u32_e32 v34, s18, v66
	v_cvt_f16_f32_e32 v18, v18
	v_cmp_gt_i32_e64 s[2:3], s16, v34
	s_and_b64 s[4:5], s[0:1], s[2:3]
	v_add_u32_e32 v1, s19, v1
	v_cndmask_b32_e64 v35, v0, 0, s[4:5]
	v_lshl_add_u32 v1, v1, 1, v35
	buffer_store_short v18, v1, s[20:23], 0 offen
	v_add_u32_e32 v1, 1, v34
	v_cvt_f16_f32_e32 v19, v19
	v_cmp_gt_i32_e64 s[4:5], s16, v1
	s_and_b64 s[4:5], s[0:1], s[4:5]
	v_add_u32_e32 v18, s19, v36
	;; [unrolled: 8-line block ×5, first 2 shown]
	v_cndmask_b32_e64 v25, v0, 0, s[8:9]
	v_cvt_f16_f32_e32 v24, v24
	v_cmp_ge_i32_e64 s[8:9], s16, v19
	v_lshl_add_u32 v20, v20, 1, v25
	s_and_b64 s[8:9], s[0:1], s[8:9]
	buffer_store_short v21, v20, s[20:23], 0 offen
	v_add_u32_e32 v20, 10, v34
	v_add_u32_e32 v21, s19, v39
	v_cndmask_b32_e64 v19, v0, 0, s[8:9]
	v_lshl_add_u32 v19, v21, 1, v19
	v_cvt_f16_f32_e32 v23, v23
	v_cmp_ge_i32_e64 s[8:9], s16, v20
	buffer_store_short v24, v19, s[20:23], 0 offen
	v_add_u32_e32 v19, 9, v34
	s_and_b64 s[8:9], s[0:1], s[8:9]
	v_add_u32_e32 v24, s19, v38
	v_cndmask_b32_e64 v25, v0, 0, s[8:9]
	v_cvt_f16_f32_e32 v22, v22
	v_cmp_ge_i32_e64 s[8:9], s16, v19
	v_lshl_add_u32 v25, v24, 1, v25
	s_and_b64 s[8:9], s[0:1], s[8:9]
	buffer_store_short v23, v25, s[20:23], 0 offen
	v_add_u32_e32 v25, s19, v42
	v_cndmask_b32_e64 v35, v0, 0, s[8:9]
	v_lshl_add_u32 v35, v25, 1, v35
	buffer_store_short v22, v35, s[20:23], 0 offen
	v_add_u32_e32 v22, 16, v34
	v_cvt_f16_f32_e32 v26, v26
	v_cmp_gt_i32_e64 s[8:9], s16, v22
	s_and_b64 s[8:9], s[0:1], s[8:9]
	v_add_u32_e32 v25, s14, v25
	v_cndmask_b32_e64 v22, v0, 0, s[8:9]
	v_lshl_add_u32 v22, v25, 1, v22
	buffer_store_short v26, v22, s[20:23], 0 offen
	v_add_u32_e32 v22, 17, v34
	v_cvt_f16_f32_e32 v25, v27
	v_cmp_gt_i32_e64 s[8:9], s16, v22
	s_and_b64 s[8:9], s[0:1], s[8:9]
	v_add_u32_e32 v24, s14, v24
	v_cndmask_b32_e64 v26, v0, 0, s[8:9]
	v_lshl_add_u32 v24, v24, 1, v26
	buffer_store_short v25, v24, s[20:23], 0 offen
	v_add_u32_e32 v24, 18, v34
	v_cvt_f16_f32_e32 v25, v28
	v_cmp_gt_i32_e64 s[8:9], s16, v24
	s_and_b64 s[8:9], s[0:1], s[8:9]
	v_add_u32_e32 v21, s14, v21
	v_cndmask_b32_e64 v26, v0, 0, s[8:9]
	v_lshl_add_u32 v21, v21, 1, v26
	buffer_store_short v25, v21, s[20:23], 0 offen
	v_add_u32_e32 v21, 19, v34
	v_cvt_f16_f32_e32 v26, v29
	v_cmp_gt_i32_e64 s[8:9], s16, v21
	s_and_b64 s[10:11], s[0:1], s[8:9]
	v_add_u32_e32 v25, s19, v47
	v_cndmask_b32_e64 v27, v0, 0, s[10:11]
	v_lshl_add_u32 v25, v25, 1, v27
	buffer_store_short v26, v25, s[20:23], 0 offen
	v_add_u32_e32 v25, 27, v34
	v_cvt_f16_f32_e32 v27, v33
	v_cmp_gt_i32_e64 s[10:11], s16, v25
	s_and_b64 s[12:13], s[0:1], s[10:11]
	v_add_u32_e32 v26, s19, v46
	v_cndmask_b32_e64 v28, v0, 0, s[12:13]
	v_lshl_add_u32 v28, v26, 1, v28
	buffer_store_short v27, v28, s[20:23], 0 offen
	v_cvt_f16_f32_e32 v28, v32
	v_cmp_ge_i32_e64 s[12:13], s16, v25
	s_and_b64 s[12:13], s[0:1], s[12:13]
	v_subrev_u32_e32 v26, s17, v26
	v_cndmask_b32_e64 v25, v0, 0, s[12:13]
	v_add_u32_e32 v27, 26, v34
	v_lshl_add_u32 v25, v26, 1, v25
	buffer_store_short v28, v25, s[20:23], 0 offen
	v_cvt_f16_f32_e32 v28, v31
	v_cmp_ge_i32_e64 s[12:13], s16, v27
	s_and_b64 s[12:13], s[0:1], s[12:13]
	v_add_u32_e32 v25, 25, v34
	v_subrev_u32_e32 v26, s17, v26
	v_cndmask_b32_e64 v29, v0, 0, s[12:13]
	v_lshl_add_u32 v29, v26, 1, v29
	v_cmp_ge_i32_e64 s[12:13], s16, v25
	buffer_store_short v28, v29, s[20:23], 0 offen
	v_add_u32_e32 v28, 24, v34
	s_and_b64 s[0:1], s[0:1], s[12:13]
	v_cvt_f16_f32_e32 v29, v30
	v_cndmask_b32_e64 v30, v0, 0, s[0:1]
	v_cvt_f16_f32_e32 v14, v14
	v_cmp_gt_i32_e64 s[0:1], s16, v28
	v_subrev_u32_e32 v26, s17, v26
	s_and_b64 s[0:1], vcc, s[0:1]
	v_lshl_add_u32 v30, v26, 1, v30
	v_subrev_u32_e32 v26, s15, v26
	v_cndmask_b32_e64 v28, v0, 0, s[0:1]
	v_cvt_f16_f32_e32 v15, v15
	v_cmp_gt_i32_e64 s[0:1], s16, v25
	v_lshl_add_u32 v28, v26, 1, v28
	s_and_b64 s[0:1], vcc, s[0:1]
	buffer_store_short v29, v30, s[20:23], 0 offen
	buffer_store_short v14, v28, s[20:23], 0 offen
	v_add_u32_e32 v14, s17, v26
	v_cndmask_b32_e64 v25, v0, 0, s[0:1]
	v_lshl_add_u32 v25, v14, 1, v25
	buffer_store_short v15, v25, s[20:23], 0 offen
	v_cvt_f16_f32_e32 v15, v16
	v_cmp_gt_i32_e64 s[0:1], s16, v27
	s_and_b64 s[0:1], vcc, s[0:1]
	v_add_u32_e32 v14, s17, v14
	v_cndmask_b32_e64 v16, v0, 0, s[0:1]
	v_lshl_add_u32 v16, v14, 1, v16
	buffer_store_short v15, v16, s[20:23], 0 offen
	v_cvt_f16_f32_e32 v15, v17
	s_and_b64 s[0:1], vcc, s[10:11]
	v_add_u32_e32 v14, s17, v14
	v_cndmask_b32_e64 v16, v0, 0, s[0:1]
	v_cvt_f16_f32_e32 v13, v13
	v_lshl_add_u32 v16, v14, 1, v16
	s_and_b64 s[0:1], vcc, s[8:9]
	buffer_store_short v15, v16, s[20:23], 0 offen
	v_subrev_u32_e32 v14, s14, v14
	v_cndmask_b32_e64 v15, v0, 0, s[0:1]
	v_cvt_f16_f32_e32 v12, v12
	v_cmp_ge_i32_e64 s[0:1], s16, v21
	v_lshl_add_u32 v15, v14, 1, v15
	s_and_b64 s[0:1], vcc, s[0:1]
	buffer_store_short v13, v15, s[20:23], 0 offen
	v_subrev_u32_e32 v13, s17, v14
	v_cndmask_b32_e64 v14, v0, 0, s[0:1]
	v_cvt_f16_f32_e32 v11, v11
	v_cmp_ge_i32_e64 s[0:1], s16, v24
	;; [unrolled: 7-line block ×3, first 2 shown]
	v_add_u32_e32 v23, 8, v34
	v_lshl_add_u32 v13, v12, 1, v13
	s_and_b64 s[0:1], vcc, s[0:1]
	buffer_store_short v11, v13, s[20:23], 0 offen
	v_subrev_u32_e32 v11, s17, v12
	v_cndmask_b32_e64 v12, v0, 0, s[0:1]
	v_cvt_f16_f32_e32 v6, v6
	v_cmp_gt_i32_e64 s[0:1], s16, v23
	v_lshl_add_u32 v12, v11, 1, v12
	s_and_b64 s[0:1], vcc, s[0:1]
	buffer_store_short v10, v12, s[20:23], 0 offen
	v_subrev_u32_e32 v10, s14, v11
	v_cndmask_b32_e64 v11, v0, 0, s[0:1]
	v_cvt_f16_f32_e32 v7, v7
	v_cmp_gt_i32_e64 s[0:1], s16, v19
	v_lshl_add_u32 v11, v10, 1, v11
	s_and_b64 s[0:1], vcc, s[0:1]
	buffer_store_short v6, v11, s[20:23], 0 offen
	v_add_u32_e32 v6, s17, v10
	v_cndmask_b32_e64 v10, v0, 0, s[0:1]
	v_lshl_add_u32 v10, v6, 1, v10
	buffer_store_short v7, v10, s[20:23], 0 offen
	v_cvt_f16_f32_e32 v7, v8
	v_cmp_gt_i32_e64 s[0:1], s16, v20
	s_and_b64 s[0:1], vcc, s[0:1]
	v_add_u32_e32 v6, s17, v6
	v_cndmask_b32_e64 v8, v0, 0, s[0:1]
	v_lshl_add_u32 v8, v6, 1, v8
	buffer_store_short v7, v8, s[20:23], 0 offen
	v_cvt_f16_f32_e32 v7, v9
	s_and_b64 s[0:1], vcc, s[6:7]
	v_add_u32_e32 v6, s17, v6
	v_cndmask_b32_e64 v8, v0, 0, s[0:1]
	v_cvt_f16_f32_e32 v5, v5
	v_lshl_add_u32 v8, v6, 1, v8
	s_and_b64 s[0:1], vcc, s[4:5]
	buffer_store_short v7, v8, s[20:23], 0 offen
	v_subrev_u32_e32 v6, s14, v6
	v_cndmask_b32_e64 v7, v0, 0, s[0:1]
	v_cvt_f16_f32_e32 v4, v4
	v_cmp_ge_i32_e64 s[0:1], s16, v18
	v_lshl_add_u32 v7, v6, 1, v7
	s_and_b64 s[0:1], vcc, s[0:1]
	buffer_store_short v5, v7, s[20:23], 0 offen
	v_subrev_u32_e32 v5, s17, v6
	v_cndmask_b32_e64 v6, v0, 0, s[0:1]
	v_cvt_f16_f32_e32 v3, v3
	v_cmp_ge_i32_e64 s[0:1], s16, v1
	v_lshl_add_u32 v6, v5, 1, v6
	s_and_b64 s[0:1], vcc, s[0:1]
	buffer_store_short v4, v6, s[20:23], 0 offen
	v_subrev_u32_e32 v4, s17, v5
	v_cndmask_b32_e64 v1, v0, 0, s[0:1]
	v_cvt_f16_f32_e32 v2, v2
	v_lshl_add_u32 v1, v4, 1, v1
	s_and_b64 s[0:1], vcc, s[2:3]
	buffer_store_short v3, v1, s[20:23], 0 offen
	v_subrev_u32_e32 v1, s17, v4
	v_cndmask_b32_e64 v0, v0, 0, s[0:1]
	v_lshl_add_u32 v0, v1, 1, v0
	buffer_store_short v2, v0, s[20:23], 0 offen
	s_endpgm
	.section	.rodata,"a",@progbits
	.p2align	6, 0x0
	.amdhsa_kernel _Z10DeviceGemmIDF16_N2ck7wrapper48BlockwisGemmXdlTraits_32x32Xdl_4x2XdlPerWave_8K1ELi8ENS0_5TupleIJNS0_17integral_constantIiLi256EEENS4_IiLi128EEENS4_IiLi32EEEEEENS1_6LayoutINS3_IJNS4_IiLi64EEENS4_IiLi4EEEEEENS0_16TensorDescriptorINS3_IJNS0_5EmbedISC_NS3_IJSB_NS4_IiLi1EEEEEELb0EEEEEENS3_IJNS0_8SequenceIJLi0EEEEEEENS3_IJNSJ_IJLi1ELi2EEEEEEESM_NS4_IlLl256EEEEEEEEvPKvSS_PviiiT2_T3_
		.amdhsa_group_segment_fixed_size 24576
		.amdhsa_private_segment_fixed_size 0
		.amdhsa_kernarg_size 68
		.amdhsa_user_sgpr_count 6
		.amdhsa_user_sgpr_private_segment_buffer 1
		.amdhsa_user_sgpr_dispatch_ptr 0
		.amdhsa_user_sgpr_queue_ptr 0
		.amdhsa_user_sgpr_kernarg_segment_ptr 1
		.amdhsa_user_sgpr_dispatch_id 0
		.amdhsa_user_sgpr_flat_scratch_init 0
		.amdhsa_user_sgpr_kernarg_preload_length 0
		.amdhsa_user_sgpr_kernarg_preload_offset 0
		.amdhsa_user_sgpr_private_segment_size 0
		.amdhsa_uses_dynamic_stack 0
		.amdhsa_system_sgpr_private_segment_wavefront_offset 0
		.amdhsa_system_sgpr_workgroup_id_x 1
		.amdhsa_system_sgpr_workgroup_id_y 1
		.amdhsa_system_sgpr_workgroup_id_z 0
		.amdhsa_system_sgpr_workgroup_info 0
		.amdhsa_system_vgpr_workitem_id 0
		.amdhsa_next_free_vgpr 194
		.amdhsa_next_free_sgpr 42
		.amdhsa_accum_offset 196
		.amdhsa_reserve_vcc 1
		.amdhsa_reserve_flat_scratch 0
		.amdhsa_float_round_mode_32 0
		.amdhsa_float_round_mode_16_64 0
		.amdhsa_float_denorm_mode_32 3
		.amdhsa_float_denorm_mode_16_64 3
		.amdhsa_dx10_clamp 1
		.amdhsa_ieee_mode 1
		.amdhsa_fp16_overflow 0
		.amdhsa_tg_split 0
		.amdhsa_exception_fp_ieee_invalid_op 0
		.amdhsa_exception_fp_denorm_src 0
		.amdhsa_exception_fp_ieee_div_zero 0
		.amdhsa_exception_fp_ieee_overflow 0
		.amdhsa_exception_fp_ieee_underflow 0
		.amdhsa_exception_fp_ieee_inexact 0
		.amdhsa_exception_int_div_zero 0
	.end_amdhsa_kernel
	.section	.text._Z10DeviceGemmIDF16_N2ck7wrapper48BlockwisGemmXdlTraits_32x32Xdl_4x2XdlPerWave_8K1ELi8ENS0_5TupleIJNS0_17integral_constantIiLi256EEENS4_IiLi128EEENS4_IiLi32EEEEEENS1_6LayoutINS3_IJNS4_IiLi64EEENS4_IiLi4EEEEEENS0_16TensorDescriptorINS3_IJNS0_5EmbedISC_NS3_IJSB_NS4_IiLi1EEEEEELb0EEEEEENS3_IJNS0_8SequenceIJLi0EEEEEEENS3_IJNSJ_IJLi1ELi2EEEEEEESM_NS4_IlLl256EEEEEEEEvPKvSS_PviiiT2_T3_,"axG",@progbits,_Z10DeviceGemmIDF16_N2ck7wrapper48BlockwisGemmXdlTraits_32x32Xdl_4x2XdlPerWave_8K1ELi8ENS0_5TupleIJNS0_17integral_constantIiLi256EEENS4_IiLi128EEENS4_IiLi32EEEEEENS1_6LayoutINS3_IJNS4_IiLi64EEENS4_IiLi4EEEEEENS0_16TensorDescriptorINS3_IJNS0_5EmbedISC_NS3_IJSB_NS4_IiLi1EEEEEELb0EEEEEENS3_IJNS0_8SequenceIJLi0EEEEEEENS3_IJNSJ_IJLi1ELi2EEEEEEESM_NS4_IlLl256EEEEEEEEvPKvSS_PviiiT2_T3_,comdat
.Lfunc_end1:
	.size	_Z10DeviceGemmIDF16_N2ck7wrapper48BlockwisGemmXdlTraits_32x32Xdl_4x2XdlPerWave_8K1ELi8ENS0_5TupleIJNS0_17integral_constantIiLi256EEENS4_IiLi128EEENS4_IiLi32EEEEEENS1_6LayoutINS3_IJNS4_IiLi64EEENS4_IiLi4EEEEEENS0_16TensorDescriptorINS3_IJNS0_5EmbedISC_NS3_IJSB_NS4_IiLi1EEEEEELb0EEEEEENS3_IJNS0_8SequenceIJLi0EEEEEEENS3_IJNSJ_IJLi1ELi2EEEEEEESM_NS4_IlLl256EEEEEEEEvPKvSS_PviiiT2_T3_, .Lfunc_end1-_Z10DeviceGemmIDF16_N2ck7wrapper48BlockwisGemmXdlTraits_32x32Xdl_4x2XdlPerWave_8K1ELi8ENS0_5TupleIJNS0_17integral_constantIiLi256EEENS4_IiLi128EEENS4_IiLi32EEEEEENS1_6LayoutINS3_IJNS4_IiLi64EEENS4_IiLi4EEEEEENS0_16TensorDescriptorINS3_IJNS0_5EmbedISC_NS3_IJSB_NS4_IiLi1EEEEEELb0EEEEEENS3_IJNS0_8SequenceIJLi0EEEEEEENS3_IJNSJ_IJLi1ELi2EEEEEEESM_NS4_IlLl256EEEEEEEEvPKvSS_PviiiT2_T3_
                                        ; -- End function
	.section	.AMDGPU.csdata,"",@progbits
; Kernel info:
; codeLenInByte = 8860
; NumSgprs: 46
; NumVgprs: 194
; NumAgprs: 0
; TotalNumVgprs: 194
; ScratchSize: 0
; MemoryBound: 0
; FloatMode: 240
; IeeeMode: 1
; LDSByteSize: 24576 bytes/workgroup (compile time only)
; SGPRBlocks: 5
; VGPRBlocks: 24
; NumSGPRsForWavesPerEU: 46
; NumVGPRsForWavesPerEU: 194
; AccumOffset: 196
; Occupancy: 2
; WaveLimiterHint : 0
; COMPUTE_PGM_RSRC2:SCRATCH_EN: 0
; COMPUTE_PGM_RSRC2:USER_SGPR: 6
; COMPUTE_PGM_RSRC2:TRAP_HANDLER: 0
; COMPUTE_PGM_RSRC2:TGID_X_EN: 1
; COMPUTE_PGM_RSRC2:TGID_Y_EN: 1
; COMPUTE_PGM_RSRC2:TGID_Z_EN: 0
; COMPUTE_PGM_RSRC2:TIDIG_COMP_CNT: 0
; COMPUTE_PGM_RSRC3_GFX90A:ACCUM_OFFSET: 48
; COMPUTE_PGM_RSRC3_GFX90A:TG_SPLIT: 0
	.text
	.p2alignl 6, 3212836864
	.fill 256, 4, 3212836864
	.protected	_ZN2ck51BlockwiseGemmXdlops_k0mk1_k0nk1_m0n0m1n1m2m3m4n2_v1ILi256EDF16_DF16_fNS_16TensorDescriptorINS_5TupleIJNS_5EmbedINS2_IJNS_17integral_constantIiLi256EEENS4_IiLi32EEEEEENS2_IJS6_NS4_IiLi1EEEEEELb0EEENS_7UnMergeINS2_IJNS4_IiLi4EEENS4_IiLi8EEEEEELb0EEENS_11PassThroughIS5_EEEEENS2_IJNS_8SequenceIJLi0EEEENSJ_IJLi2EEEENSJ_IJLi1EEEEEEENS2_IJNSJ_IJLi1ELi2EEEENSJ_IJLi3ELi4EEEENSJ_IJLi5EEEEEEENSJ_IJLi3ELi5ELi4EEEENS4_IlLl8192EEEEENS1_INS2_IJNS3_INS2_IJNS4_IiLi128EEES6_EEES9_Lb0EEESF_NSG_ISV_EEEEESN_SR_SS_NS4_IlLl4096EEEEELi32ELi32ELi4ELi2ELi8EDF16_DF16_E6MWavesE ; @_ZN2ck51BlockwiseGemmXdlops_k0mk1_k0nk1_m0n0m1n1m2m3m4n2_v1ILi256EDF16_DF16_fNS_16TensorDescriptorINS_5TupleIJNS_5EmbedINS2_IJNS_17integral_constantIiLi256EEENS4_IiLi32EEEEEENS2_IJS6_NS4_IiLi1EEEEEELb0EEENS_7UnMergeINS2_IJNS4_IiLi4EEENS4_IiLi8EEEEEELb0EEENS_11PassThroughIS5_EEEEENS2_IJNS_8SequenceIJLi0EEEENSJ_IJLi2EEEENSJ_IJLi1EEEEEEENS2_IJNSJ_IJLi1ELi2EEEENSJ_IJLi3ELi4EEEENSJ_IJLi5EEEEEEENSJ_IJLi3ELi5ELi4EEEENS4_IlLl8192EEEEENS1_INS2_IJNS3_INS2_IJNS4_IiLi128EEES6_EEES9_Lb0EEESF_NSG_ISV_EEEEESN_SR_SS_NS4_IlLl4096EEEEELi32ELi32ELi4ELi2ELi8EDF16_DF16_E6MWavesE
	.type	_ZN2ck51BlockwiseGemmXdlops_k0mk1_k0nk1_m0n0m1n1m2m3m4n2_v1ILi256EDF16_DF16_fNS_16TensorDescriptorINS_5TupleIJNS_5EmbedINS2_IJNS_17integral_constantIiLi256EEENS4_IiLi32EEEEEENS2_IJS6_NS4_IiLi1EEEEEELb0EEENS_7UnMergeINS2_IJNS4_IiLi4EEENS4_IiLi8EEEEEELb0EEENS_11PassThroughIS5_EEEEENS2_IJNS_8SequenceIJLi0EEEENSJ_IJLi2EEEENSJ_IJLi1EEEEEEENS2_IJNSJ_IJLi1ELi2EEEENSJ_IJLi3ELi4EEEENSJ_IJLi5EEEEEEENSJ_IJLi3ELi5ELi4EEEENS4_IlLl8192EEEEENS1_INS2_IJNS3_INS2_IJNS4_IiLi128EEES6_EEES9_Lb0EEESF_NSG_ISV_EEEEESN_SR_SS_NS4_IlLl4096EEEEELi32ELi32ELi4ELi2ELi8EDF16_DF16_E6MWavesE,@object
	.section	.rodata._ZN2ck51BlockwiseGemmXdlops_k0mk1_k0nk1_m0n0m1n1m2m3m4n2_v1ILi256EDF16_DF16_fNS_16TensorDescriptorINS_5TupleIJNS_5EmbedINS2_IJNS_17integral_constantIiLi256EEENS4_IiLi32EEEEEENS2_IJS6_NS4_IiLi1EEEEEELb0EEENS_7UnMergeINS2_IJNS4_IiLi4EEENS4_IiLi8EEEEEELb0EEENS_11PassThroughIS5_EEEEENS2_IJNS_8SequenceIJLi0EEEENSJ_IJLi2EEEENSJ_IJLi1EEEEEEENS2_IJNSJ_IJLi1ELi2EEEENSJ_IJLi3ELi4EEEENSJ_IJLi5EEEEEEENSJ_IJLi3ELi5ELi4EEEENS4_IlLl8192EEEEENS1_INS2_IJNS3_INS2_IJNS4_IiLi128EEES6_EEES9_Lb0EEESF_NSG_ISV_EEEEESN_SR_SS_NS4_IlLl4096EEEEELi32ELi32ELi4ELi2ELi8EDF16_DF16_E6MWavesE,"aG",@progbits,_ZN2ck51BlockwiseGemmXdlops_k0mk1_k0nk1_m0n0m1n1m2m3m4n2_v1ILi256EDF16_DF16_fNS_16TensorDescriptorINS_5TupleIJNS_5EmbedINS2_IJNS_17integral_constantIiLi256EEENS4_IiLi32EEEEEENS2_IJS6_NS4_IiLi1EEEEEELb0EEENS_7UnMergeINS2_IJNS4_IiLi4EEENS4_IiLi8EEEEEELb0EEENS_11PassThroughIS5_EEEEENS2_IJNS_8SequenceIJLi0EEEENSJ_IJLi2EEEENSJ_IJLi1EEEEEEENS2_IJNSJ_IJLi1ELi2EEEENSJ_IJLi3ELi4EEEENSJ_IJLi5EEEEEEENSJ_IJLi3ELi5ELi4EEEENS4_IlLl8192EEEEENS1_INS2_IJNS3_INS2_IJNS4_IiLi128EEES6_EEES9_Lb0EEESF_NSG_ISV_EEEEESN_SR_SS_NS4_IlLl4096EEEEELi32ELi32ELi4ELi2ELi8EDF16_DF16_E6MWavesE,comdat
	.weak	_ZN2ck51BlockwiseGemmXdlops_k0mk1_k0nk1_m0n0m1n1m2m3m4n2_v1ILi256EDF16_DF16_fNS_16TensorDescriptorINS_5TupleIJNS_5EmbedINS2_IJNS_17integral_constantIiLi256EEENS4_IiLi32EEEEEENS2_IJS6_NS4_IiLi1EEEEEELb0EEENS_7UnMergeINS2_IJNS4_IiLi4EEENS4_IiLi8EEEEEELb0EEENS_11PassThroughIS5_EEEEENS2_IJNS_8SequenceIJLi0EEEENSJ_IJLi2EEEENSJ_IJLi1EEEEEEENS2_IJNSJ_IJLi1ELi2EEEENSJ_IJLi3ELi4EEEENSJ_IJLi5EEEEEEENSJ_IJLi3ELi5ELi4EEEENS4_IlLl8192EEEEENS1_INS2_IJNS3_INS2_IJNS4_IiLi128EEES6_EEES9_Lb0EEESF_NSG_ISV_EEEEESN_SR_SS_NS4_IlLl4096EEEEELi32ELi32ELi4ELi2ELi8EDF16_DF16_E6MWavesE
	.p2align	2, 0x0
_ZN2ck51BlockwiseGemmXdlops_k0mk1_k0nk1_m0n0m1n1m2m3m4n2_v1ILi256EDF16_DF16_fNS_16TensorDescriptorINS_5TupleIJNS_5EmbedINS2_IJNS_17integral_constantIiLi256EEENS4_IiLi32EEEEEENS2_IJS6_NS4_IiLi1EEEEEELb0EEENS_7UnMergeINS2_IJNS4_IiLi4EEENS4_IiLi8EEEEEELb0EEENS_11PassThroughIS5_EEEEENS2_IJNS_8SequenceIJLi0EEEENSJ_IJLi2EEEENSJ_IJLi1EEEEEEENS2_IJNSJ_IJLi1ELi2EEEENSJ_IJLi3ELi4EEEENSJ_IJLi5EEEEEEENSJ_IJLi3ELi5ELi4EEEENS4_IlLl8192EEEEENS1_INS2_IJNS3_INS2_IJNS4_IiLi128EEES6_EEES9_Lb0EEESF_NSG_ISV_EEEEESN_SR_SS_NS4_IlLl4096EEEEELi32ELi32ELi4ELi2ELi8EDF16_DF16_E6MWavesE:
	.long	2                               ; 0x2
	.size	_ZN2ck51BlockwiseGemmXdlops_k0mk1_k0nk1_m0n0m1n1m2m3m4n2_v1ILi256EDF16_DF16_fNS_16TensorDescriptorINS_5TupleIJNS_5EmbedINS2_IJNS_17integral_constantIiLi256EEENS4_IiLi32EEEEEENS2_IJS6_NS4_IiLi1EEEEEELb0EEENS_7UnMergeINS2_IJNS4_IiLi4EEENS4_IiLi8EEEEEELb0EEENS_11PassThroughIS5_EEEEENS2_IJNS_8SequenceIJLi0EEEENSJ_IJLi2EEEENSJ_IJLi1EEEEEEENS2_IJNSJ_IJLi1ELi2EEEENSJ_IJLi3ELi4EEEENSJ_IJLi5EEEEEEENSJ_IJLi3ELi5ELi4EEEENS4_IlLl8192EEEEENS1_INS2_IJNS3_INS2_IJNS4_IiLi128EEES6_EEES9_Lb0EEESF_NSG_ISV_EEEEESN_SR_SS_NS4_IlLl4096EEEEELi32ELi32ELi4ELi2ELi8EDF16_DF16_E6MWavesE, 4

	.protected	_ZN2ck51BlockwiseGemmXdlops_k0mk1_k0nk1_m0n0m1n1m2m3m4n2_v1ILi256EDF16_DF16_fNS_16TensorDescriptorINS_5TupleIJNS_5EmbedINS2_IJNS_17integral_constantIiLi256EEENS4_IiLi32EEEEEENS2_IJS6_NS4_IiLi1EEEEEELb0EEENS_7UnMergeINS2_IJNS4_IiLi4EEENS4_IiLi8EEEEEELb0EEENS_11PassThroughIS5_EEEEENS2_IJNS_8SequenceIJLi0EEEENSJ_IJLi2EEEENSJ_IJLi1EEEEEEENS2_IJNSJ_IJLi1ELi2EEEENSJ_IJLi3ELi4EEEENSJ_IJLi5EEEEEEENSJ_IJLi3ELi5ELi4EEEENS4_IlLl8192EEEEENS1_INS2_IJNS3_INS2_IJNS4_IiLi128EEES6_EEES9_Lb0EEESF_NSG_ISV_EEEEESN_SR_SS_NS4_IlLl4096EEEEELi32ELi32ELi4ELi2ELi8EDF16_DF16_E6NWavesE ; @_ZN2ck51BlockwiseGemmXdlops_k0mk1_k0nk1_m0n0m1n1m2m3m4n2_v1ILi256EDF16_DF16_fNS_16TensorDescriptorINS_5TupleIJNS_5EmbedINS2_IJNS_17integral_constantIiLi256EEENS4_IiLi32EEEEEENS2_IJS6_NS4_IiLi1EEEEEELb0EEENS_7UnMergeINS2_IJNS4_IiLi4EEENS4_IiLi8EEEEEELb0EEENS_11PassThroughIS5_EEEEENS2_IJNS_8SequenceIJLi0EEEENSJ_IJLi2EEEENSJ_IJLi1EEEEEEENS2_IJNSJ_IJLi1ELi2EEEENSJ_IJLi3ELi4EEEENSJ_IJLi5EEEEEEENSJ_IJLi3ELi5ELi4EEEENS4_IlLl8192EEEEENS1_INS2_IJNS3_INS2_IJNS4_IiLi128EEES6_EEES9_Lb0EEESF_NSG_ISV_EEEEESN_SR_SS_NS4_IlLl4096EEEEELi32ELi32ELi4ELi2ELi8EDF16_DF16_E6NWavesE
	.type	_ZN2ck51BlockwiseGemmXdlops_k0mk1_k0nk1_m0n0m1n1m2m3m4n2_v1ILi256EDF16_DF16_fNS_16TensorDescriptorINS_5TupleIJNS_5EmbedINS2_IJNS_17integral_constantIiLi256EEENS4_IiLi32EEEEEENS2_IJS6_NS4_IiLi1EEEEEELb0EEENS_7UnMergeINS2_IJNS4_IiLi4EEENS4_IiLi8EEEEEELb0EEENS_11PassThroughIS5_EEEEENS2_IJNS_8SequenceIJLi0EEEENSJ_IJLi2EEEENSJ_IJLi1EEEEEEENS2_IJNSJ_IJLi1ELi2EEEENSJ_IJLi3ELi4EEEENSJ_IJLi5EEEEEEENSJ_IJLi3ELi5ELi4EEEENS4_IlLl8192EEEEENS1_INS2_IJNS3_INS2_IJNS4_IiLi128EEES6_EEES9_Lb0EEESF_NSG_ISV_EEEEESN_SR_SS_NS4_IlLl4096EEEEELi32ELi32ELi4ELi2ELi8EDF16_DF16_E6NWavesE,@object
	.section	.rodata._ZN2ck51BlockwiseGemmXdlops_k0mk1_k0nk1_m0n0m1n1m2m3m4n2_v1ILi256EDF16_DF16_fNS_16TensorDescriptorINS_5TupleIJNS_5EmbedINS2_IJNS_17integral_constantIiLi256EEENS4_IiLi32EEEEEENS2_IJS6_NS4_IiLi1EEEEEELb0EEENS_7UnMergeINS2_IJNS4_IiLi4EEENS4_IiLi8EEEEEELb0EEENS_11PassThroughIS5_EEEEENS2_IJNS_8SequenceIJLi0EEEENSJ_IJLi2EEEENSJ_IJLi1EEEEEEENS2_IJNSJ_IJLi1ELi2EEEENSJ_IJLi3ELi4EEEENSJ_IJLi5EEEEEEENSJ_IJLi3ELi5ELi4EEEENS4_IlLl8192EEEEENS1_INS2_IJNS3_INS2_IJNS4_IiLi128EEES6_EEES9_Lb0EEESF_NSG_ISV_EEEEESN_SR_SS_NS4_IlLl4096EEEEELi32ELi32ELi4ELi2ELi8EDF16_DF16_E6NWavesE,"aG",@progbits,_ZN2ck51BlockwiseGemmXdlops_k0mk1_k0nk1_m0n0m1n1m2m3m4n2_v1ILi256EDF16_DF16_fNS_16TensorDescriptorINS_5TupleIJNS_5EmbedINS2_IJNS_17integral_constantIiLi256EEENS4_IiLi32EEEEEENS2_IJS6_NS4_IiLi1EEEEEELb0EEENS_7UnMergeINS2_IJNS4_IiLi4EEENS4_IiLi8EEEEEELb0EEENS_11PassThroughIS5_EEEEENS2_IJNS_8SequenceIJLi0EEEENSJ_IJLi2EEEENSJ_IJLi1EEEEEEENS2_IJNSJ_IJLi1ELi2EEEENSJ_IJLi3ELi4EEEENSJ_IJLi5EEEEEEENSJ_IJLi3ELi5ELi4EEEENS4_IlLl8192EEEEENS1_INS2_IJNS3_INS2_IJNS4_IiLi128EEES6_EEES9_Lb0EEESF_NSG_ISV_EEEEESN_SR_SS_NS4_IlLl4096EEEEELi32ELi32ELi4ELi2ELi8EDF16_DF16_E6NWavesE,comdat
	.weak	_ZN2ck51BlockwiseGemmXdlops_k0mk1_k0nk1_m0n0m1n1m2m3m4n2_v1ILi256EDF16_DF16_fNS_16TensorDescriptorINS_5TupleIJNS_5EmbedINS2_IJNS_17integral_constantIiLi256EEENS4_IiLi32EEEEEENS2_IJS6_NS4_IiLi1EEEEEELb0EEENS_7UnMergeINS2_IJNS4_IiLi4EEENS4_IiLi8EEEEEELb0EEENS_11PassThroughIS5_EEEEENS2_IJNS_8SequenceIJLi0EEEENSJ_IJLi2EEEENSJ_IJLi1EEEEEEENS2_IJNSJ_IJLi1ELi2EEEENSJ_IJLi3ELi4EEEENSJ_IJLi5EEEEEEENSJ_IJLi3ELi5ELi4EEEENS4_IlLl8192EEEEENS1_INS2_IJNS3_INS2_IJNS4_IiLi128EEES6_EEES9_Lb0EEESF_NSG_ISV_EEEEESN_SR_SS_NS4_IlLl4096EEEEELi32ELi32ELi4ELi2ELi8EDF16_DF16_E6NWavesE
	.p2align	2, 0x0
_ZN2ck51BlockwiseGemmXdlops_k0mk1_k0nk1_m0n0m1n1m2m3m4n2_v1ILi256EDF16_DF16_fNS_16TensorDescriptorINS_5TupleIJNS_5EmbedINS2_IJNS_17integral_constantIiLi256EEENS4_IiLi32EEEEEENS2_IJS6_NS4_IiLi1EEEEEELb0EEENS_7UnMergeINS2_IJNS4_IiLi4EEENS4_IiLi8EEEEEELb0EEENS_11PassThroughIS5_EEEEENS2_IJNS_8SequenceIJLi0EEEENSJ_IJLi2EEEENSJ_IJLi1EEEEEEENS2_IJNSJ_IJLi1ELi2EEEENSJ_IJLi3ELi4EEEENSJ_IJLi5EEEEEEENSJ_IJLi3ELi5ELi4EEEENS4_IlLl8192EEEEENS1_INS2_IJNS3_INS2_IJNS4_IiLi128EEES6_EEES9_Lb0EEESF_NSG_ISV_EEEEESN_SR_SS_NS4_IlLl4096EEEEELi32ELi32ELi4ELi2ELi8EDF16_DF16_E6NWavesE:
	.long	2                               ; 0x2
	.size	_ZN2ck51BlockwiseGemmXdlops_k0mk1_k0nk1_m0n0m1n1m2m3m4n2_v1ILi256EDF16_DF16_fNS_16TensorDescriptorINS_5TupleIJNS_5EmbedINS2_IJNS_17integral_constantIiLi256EEENS4_IiLi32EEEEEENS2_IJS6_NS4_IiLi1EEEEEELb0EEENS_7UnMergeINS2_IJNS4_IiLi4EEENS4_IiLi8EEEEEELb0EEENS_11PassThroughIS5_EEEEENS2_IJNS_8SequenceIJLi0EEEENSJ_IJLi2EEEENSJ_IJLi1EEEEEEENS2_IJNSJ_IJLi1ELi2EEEENSJ_IJLi3ELi4EEEENSJ_IJLi5EEEEEEENSJ_IJLi3ELi5ELi4EEEENS4_IlLl8192EEEEENS1_INS2_IJNS3_INS2_IJNS4_IiLi128EEES6_EEES9_Lb0EEESF_NSG_ISV_EEEEESN_SR_SS_NS4_IlLl4096EEEEELi32ELi32ELi4ELi2ELi8EDF16_DF16_E6NWavesE, 4

	.type	__hip_cuid_38dd239c41c451c3,@object ; @__hip_cuid_38dd239c41c451c3
	.section	.bss,"aw",@nobits
	.globl	__hip_cuid_38dd239c41c451c3
__hip_cuid_38dd239c41c451c3:
	.byte	0                               ; 0x0
	.size	__hip_cuid_38dd239c41c451c3, 1

	.ident	"AMD clang version 19.0.0git (https://github.com/RadeonOpenCompute/llvm-project roc-6.4.0 25133 c7fe45cf4b819c5991fe208aaa96edf142730f1d)"
	.section	".note.GNU-stack","",@progbits
	.addrsig
	.addrsig_sym __hip_cuid_38dd239c41c451c3
	.amdgpu_metadata
---
amdhsa.kernels:
  - .agpr_count:     0
    .args:           []
    .group_segment_fixed_size: 0
    .kernarg_segment_align: 4
    .kernarg_segment_size: 0
    .language:       OpenCL C
    .language_version:
      - 2
      - 0
    .max_flat_workgroup_size: 1024
    .name:           _ZN2ckL12flush_icacheEv
    .private_segment_fixed_size: 0
    .sgpr_count:     4
    .sgpr_spill_count: 0
    .symbol:         _ZN2ckL12flush_icacheEv.kd
    .uniform_work_group_size: 1
    .uses_dynamic_stack: false
    .vgpr_count:     0
    .vgpr_spill_count: 0
    .wavefront_size: 64
  - .agpr_count:     0
    .args:
      - .address_space:  global
        .offset:         0
        .size:           8
        .value_kind:     global_buffer
      - .address_space:  global
        .offset:         8
        .size:           8
        .value_kind:     global_buffer
      - .address_space:  global
        .offset:         16
        .size:           8
        .value_kind:     global_buffer
      - .offset:         24
        .size:           4
        .value_kind:     by_value
      - .offset:         28
        .size:           4
        .value_kind:     by_value
      - .offset:         32
        .size:           4
        .value_kind:     by_value
      - .offset:         36
        .size:           3
        .value_kind:     by_value
      - .offset:         39
        .size:           27
        .value_kind:     by_value
    .group_segment_fixed_size: 24576
    .kernarg_segment_align: 8
    .kernarg_segment_size: 68
    .language:       OpenCL C
    .language_version:
      - 2
      - 0
    .max_flat_workgroup_size: 256
    .name:           _Z10DeviceGemmIDF16_N2ck7wrapper48BlockwisGemmXdlTraits_32x32Xdl_4x2XdlPerWave_8K1ELi8ENS0_5TupleIJNS0_17integral_constantIiLi256EEENS4_IiLi128EEENS4_IiLi32EEEEEENS1_6LayoutINS3_IJNS4_IiLi64EEENS4_IiLi4EEEEEENS0_16TensorDescriptorINS3_IJNS0_5EmbedISC_NS3_IJSB_NS4_IiLi1EEEEEELb0EEEEEENS3_IJNS0_8SequenceIJLi0EEEEEEENS3_IJNSJ_IJLi1ELi2EEEEEEESM_NS4_IlLl256EEEEEEEEvPKvSS_PviiiT2_T3_
    .private_segment_fixed_size: 0
    .sgpr_count:     46
    .sgpr_spill_count: 0
    .symbol:         _Z10DeviceGemmIDF16_N2ck7wrapper48BlockwisGemmXdlTraits_32x32Xdl_4x2XdlPerWave_8K1ELi8ENS0_5TupleIJNS0_17integral_constantIiLi256EEENS4_IiLi128EEENS4_IiLi32EEEEEENS1_6LayoutINS3_IJNS4_IiLi64EEENS4_IiLi4EEEEEENS0_16TensorDescriptorINS3_IJNS0_5EmbedISC_NS3_IJSB_NS4_IiLi1EEEEEELb0EEEEEENS3_IJNS0_8SequenceIJLi0EEEEEEENS3_IJNSJ_IJLi1ELi2EEEEEEESM_NS4_IlLl256EEEEEEEEvPKvSS_PviiiT2_T3_.kd
    .uniform_work_group_size: 1
    .uses_dynamic_stack: false
    .vgpr_count:     194
    .vgpr_spill_count: 0
    .wavefront_size: 64
amdhsa.target:   amdgcn-amd-amdhsa--gfx90a
amdhsa.version:
  - 1
  - 2
...

	.end_amdgpu_metadata
